;; amdgpu-corpus repo=ROCm/rocFFT kind=compiled arch=gfx906 opt=O3
	.text
	.amdgcn_target "amdgcn-amd-amdhsa--gfx906"
	.amdhsa_code_object_version 6
	.protected	bluestein_single_back_len858_dim1_half_op_CI_CI ; -- Begin function bluestein_single_back_len858_dim1_half_op_CI_CI
	.globl	bluestein_single_back_len858_dim1_half_op_CI_CI
	.p2align	8
	.type	bluestein_single_back_len858_dim1_half_op_CI_CI,@function
bluestein_single_back_len858_dim1_half_op_CI_CI: ; @bluestein_single_back_len858_dim1_half_op_CI_CI
; %bb.0:
	v_mul_u32_u24_e32 v1, 0x349, v0
	s_load_dwordx4 s[0:3], s[4:5], 0x28
	v_lshrrev_b32_e32 v1, 16, v1
	v_mad_u64_u32 v[16:17], s[6:7], s6, 3, v[1:2]
	v_mov_b32_e32 v17, 0
	s_waitcnt lgkmcnt(0)
	v_cmp_gt_u64_e32 vcc, s[0:1], v[16:17]
	s_and_saveexec_b64 s[0:1], vcc
	s_cbranch_execz .LBB0_23
; %bb.1:
	s_mov_b32 s0, 0xaaaaaaab
	v_mul_hi_u32 v2, v16, s0
	v_mul_lo_u16_e32 v1, 0x4e, v1
	s_load_dwordx2 s[6:7], s[4:5], 0x0
	s_load_dwordx2 s[12:13], s[4:5], 0x38
	v_sub_u16_e32 v33, v0, v1
	v_lshrrev_b32_e32 v0, 1, v2
	v_lshl_add_u32 v0, v0, 1, v0
	v_sub_u32_e32 v0, v16, v0
	v_mul_u32_u24_e32 v12, 0x35a, v0
	s_movk_i32 s0, 0x42
	v_cmp_gt_u16_e32 vcc, s0, v33
	v_lshlrev_b32_e32 v32, 2, v33
	v_lshlrev_b32_e32 v35, 2, v12
	s_and_saveexec_b64 s[8:9], vcc
	s_cbranch_execz .LBB0_3
; %bb.2:
	s_load_dwordx2 s[0:1], s[4:5], 0x18
	s_waitcnt lgkmcnt(0)
	s_load_dwordx4 s[16:19], s[0:1], 0x0
	s_waitcnt lgkmcnt(0)
	v_mad_u64_u32 v[0:1], s[0:1], s18, v16, 0
	v_mad_u64_u32 v[2:3], s[0:1], s16, v33, 0
	;; [unrolled: 1-line block ×4, first 2 shown]
	v_mov_b32_e32 v1, v4
	v_lshlrev_b64 v[0:1], 2, v[0:1]
	v_mov_b32_e32 v3, v5
	v_mov_b32_e32 v6, s3
	v_lshlrev_b64 v[2:3], 2, v[2:3]
	v_add_co_u32_e64 v0, s[0:1], s2, v0
	v_addc_co_u32_e64 v1, s[0:1], v6, v1, s[0:1]
	v_add_co_u32_e64 v0, s[0:1], v0, v2
	v_addc_co_u32_e64 v1, s[0:1], v1, v3, s[0:1]
	global_load_dword v2, v[0:1], off
	global_load_dword v3, v32, s[6:7]
	s_mul_i32 s0, s17, 0x108
	s_mul_hi_u32 s3, s16, 0x108
	s_mul_i32 s2, s16, 0x108
	s_add_i32 s3, s3, s0
	v_mov_b32_e32 v5, s3
	v_add_co_u32_e64 v0, s[0:1], s2, v0
	v_addc_co_u32_e64 v1, s[0:1], v1, v5, s[0:1]
	global_load_dword v5, v[0:1], off
	global_load_dword v6, v32, s[6:7] offset:264
	global_load_dword v7, v32, s[6:7] offset:528
	;; [unrolled: 1-line block ×7, first 2 shown]
	v_mov_b32_e32 v14, s3
	v_add_co_u32_e64 v0, s[0:1], s2, v0
	v_addc_co_u32_e64 v1, s[0:1], v1, v14, s[0:1]
	global_load_dword v14, v[0:1], off
	v_mov_b32_e32 v15, s3
	v_add_co_u32_e64 v0, s[0:1], s2, v0
	v_addc_co_u32_e64 v1, s[0:1], v1, v15, s[0:1]
	global_load_dword v15, v[0:1], off
	;; [unrolled: 4-line block ×3, first 2 shown]
	global_load_dword v18, v32, s[6:7] offset:2112
	global_load_dword v19, v32, s[6:7] offset:2376
	global_load_dword v20, v32, s[6:7] offset:2640
	v_mov_b32_e32 v21, s3
	v_add_co_u32_e64 v0, s[0:1], s2, v0
	v_addc_co_u32_e64 v1, s[0:1], v1, v21, s[0:1]
	global_load_dword v21, v[0:1], off
	v_mov_b32_e32 v22, s3
	v_add_co_u32_e64 v0, s[0:1], s2, v0
	v_addc_co_u32_e64 v1, s[0:1], v1, v22, s[0:1]
	global_load_dword v22, v[0:1], off
	;; [unrolled: 4-line block ×6, first 2 shown]
	v_add_co_u32_e64 v0, s[0:1], s2, v0
	v_lshl_add_u32 v4, v33, 2, v35
	s_waitcnt vmcnt(21)
	v_lshrrev_b32_e32 v27, 16, v2
	s_waitcnt vmcnt(20)
	v_mul_f16_sdwa v28, v3, v2 dst_sel:DWORD dst_unused:UNUSED_PAD src0_sel:WORD_1 src1_sel:DWORD
	v_mul_f16_sdwa v29, v3, v27 dst_sel:DWORD dst_unused:UNUSED_PAD src0_sel:WORD_1 src1_sel:DWORD
	v_fma_f16 v27, v3, v27, -v28
	v_fma_f16 v2, v3, v2, v29
	v_mov_b32_e32 v3, s3
	v_addc_co_u32_e64 v1, s[0:1], v1, v3, s[0:1]
	global_load_dword v3, v[0:1], off
	global_load_dword v28, v32, s[6:7] offset:2904
	v_mov_b32_e32 v29, s3
	v_add_co_u32_e64 v0, s[0:1], s2, v0
	v_addc_co_u32_e64 v1, s[0:1], v1, v29, s[0:1]
	global_load_dword v29, v[0:1], off
	global_load_dword v30, v32, s[6:7] offset:3168
	v_pack_b32_f16 v0, v2, v27
	ds_write_b32 v4, v0
	s_waitcnt vmcnt(23)
	v_lshrrev_b32_e32 v0, 16, v5
	s_waitcnt vmcnt(22)
	v_mul_f16_sdwa v1, v6, v0 dst_sel:DWORD dst_unused:UNUSED_PAD src0_sel:WORD_1 src1_sel:DWORD
	v_mul_f16_sdwa v4, v6, v5 dst_sel:DWORD dst_unused:UNUSED_PAD src0_sel:WORD_1 src1_sel:DWORD
	v_fma_f16 v1, v6, v5, v1
	v_fma_f16 v0, v6, v0, -v4
	v_pack_b32_f16 v0, v1, v0
	s_waitcnt vmcnt(15)
	v_lshrrev_b32_e32 v1, 16, v14
	v_mul_f16_sdwa v4, v7, v1 dst_sel:DWORD dst_unused:UNUSED_PAD src0_sel:WORD_1 src1_sel:DWORD
	v_mul_f16_sdwa v5, v7, v14 dst_sel:DWORD dst_unused:UNUSED_PAD src0_sel:WORD_1 src1_sel:DWORD
	v_fma_f16 v4, v7, v14, v4
	v_fma_f16 v1, v7, v1, -v5
	v_add_u32_e32 v2, v35, v32
	v_pack_b32_f16 v1, v4, v1
	ds_write2_b32 v2, v0, v1 offset0:66 offset1:132
	s_waitcnt vmcnt(14)
	v_lshrrev_b32_e32 v0, 16, v15
	v_mul_f16_sdwa v1, v8, v0 dst_sel:DWORD dst_unused:UNUSED_PAD src0_sel:WORD_1 src1_sel:DWORD
	v_mul_f16_sdwa v4, v8, v15 dst_sel:DWORD dst_unused:UNUSED_PAD src0_sel:WORD_1 src1_sel:DWORD
	v_fma_f16 v1, v8, v15, v1
	v_fma_f16 v0, v8, v0, -v4
	v_pack_b32_f16 v0, v1, v0
	s_waitcnt vmcnt(13)
	v_lshrrev_b32_e32 v1, 16, v17
	v_mul_f16_sdwa v4, v9, v1 dst_sel:DWORD dst_unused:UNUSED_PAD src0_sel:WORD_1 src1_sel:DWORD
	v_mul_f16_sdwa v5, v9, v17 dst_sel:DWORD dst_unused:UNUSED_PAD src0_sel:WORD_1 src1_sel:DWORD
	v_fma_f16 v4, v9, v17, v4
	v_fma_f16 v1, v9, v1, -v5
	v_pack_b32_f16 v1, v4, v1
	v_add_u32_e32 v4, 0x200, v2
	ds_write2_b32 v4, v0, v1 offset0:70 offset1:136
	s_waitcnt vmcnt(9)
	v_lshrrev_b32_e32 v0, 16, v21
	v_mul_f16_sdwa v1, v10, v0 dst_sel:DWORD dst_unused:UNUSED_PAD src0_sel:WORD_1 src1_sel:DWORD
	v_mul_f16_sdwa v4, v10, v21 dst_sel:DWORD dst_unused:UNUSED_PAD src0_sel:WORD_1 src1_sel:DWORD
	v_fma_f16 v1, v10, v21, v1
	v_fma_f16 v0, v10, v0, -v4
	v_pack_b32_f16 v0, v1, v0
	s_waitcnt vmcnt(8)
	v_lshrrev_b32_e32 v1, 16, v22
	v_mul_f16_sdwa v4, v11, v1 dst_sel:DWORD dst_unused:UNUSED_PAD src0_sel:WORD_1 src1_sel:DWORD
	v_mul_f16_sdwa v5, v11, v22 dst_sel:DWORD dst_unused:UNUSED_PAD src0_sel:WORD_1 src1_sel:DWORD
	v_fma_f16 v4, v11, v22, v4
	v_fma_f16 v1, v11, v1, -v5
	v_pack_b32_f16 v1, v4, v1
	v_add_u32_e32 v4, 0x400, v2
	;; [unrolled: 16-line block ×4, first 2 shown]
	ds_write2_b32 v4, v0, v1 offset0:82 offset1:148
	s_waitcnt vmcnt(3)
	v_lshrrev_b32_e32 v0, 16, v3
	s_waitcnt vmcnt(2)
	v_mul_f16_sdwa v1, v28, v0 dst_sel:DWORD dst_unused:UNUSED_PAD src0_sel:WORD_1 src1_sel:DWORD
	v_fma_f16 v1, v28, v3, v1
	v_mul_f16_sdwa v3, v28, v3 dst_sel:DWORD dst_unused:UNUSED_PAD src0_sel:WORD_1 src1_sel:DWORD
	v_fma_f16 v0, v28, v0, -v3
	v_pack_b32_f16 v0, v1, v0
	s_waitcnt vmcnt(1)
	v_lshrrev_b32_e32 v1, 16, v29
	s_waitcnt vmcnt(0)
	v_mul_f16_sdwa v3, v30, v1 dst_sel:DWORD dst_unused:UNUSED_PAD src0_sel:WORD_1 src1_sel:DWORD
	v_mul_f16_sdwa v4, v30, v29 dst_sel:DWORD dst_unused:UNUSED_PAD src0_sel:WORD_1 src1_sel:DWORD
	v_fma_f16 v3, v30, v29, v3
	v_fma_f16 v1, v30, v1, -v4
	v_pack_b32_f16 v1, v3, v1
	v_add_u32_e32 v2, 0xa00, v2
	ds_write2_b32 v2, v0, v1 offset0:86 offset1:152
.LBB0_3:
	s_or_b64 exec, exec, s[8:9]
	s_load_dwordx2 s[0:1], s[4:5], 0x20
	s_load_dwordx2 s[2:3], s[4:5], 0x8
	v_mov_b32_e32 v2, 0
	s_waitcnt lgkmcnt(0)
	s_barrier
	s_waitcnt lgkmcnt(0)
                                        ; implicit-def: $vgpr13
                                        ; implicit-def: $vgpr1
                                        ; implicit-def: $vgpr7
                                        ; implicit-def: $vgpr5
                                        ; implicit-def: $vgpr11
                                        ; implicit-def: $vgpr9
	s_and_saveexec_b64 s[4:5], vcc
	s_cbranch_execz .LBB0_5
; %bb.4:
	v_lshl_add_u32 v13, v12, 2, v32
	v_add_u32_e32 v0, 0x400, v13
	ds_read2_b32 v[2:3], v13 offset1:66
	ds_read2_b32 v[8:9], v13 offset0:132 offset1:198
	ds_read2_b32 v[10:11], v0 offset0:8 offset1:74
	;; [unrolled: 1-line block ×3, first 2 shown]
	v_add_u32_e32 v0, 0x800, v13
	ds_read2_b32 v[6:7], v0 offset0:16 offset1:82
	ds_read2_b32 v[0:1], v0 offset0:148 offset1:214
	ds_read_b32 v13, v13 offset:3168
.LBB0_5:
	s_or_b64 exec, exec, s[4:5]
	s_waitcnt lgkmcnt(0)
	v_pk_add_f16 v14, v3, v13 neg_lo:[0,1] neg_hi:[0,1]
	s_mov_b32 s4, 0xb770
	v_pk_add_f16 v17, v13, v3
	s_movk_i32 s8, 0x3b15
	v_mul_f16_sdwa v40, v14, s4 dst_sel:DWORD dst_unused:UNUSED_PAD src0_sel:WORD_1 src1_sel:DWORD
	v_fma_f16 v15, v17, s8, v40
	v_lshrrev_b32_e32 v28, 16, v17
	s_movk_i32 s9, 0x388b
	v_mul_f16_e32 v44, 0xba95, v14
	v_add_f16_e32 v18, v15, v2
	v_fma_f16 v15, v28, s9, -v44
	s_mov_b32 s21, 0xba95
	v_add_f16_sdwa v20, v15, v2 dst_sel:DWORD dst_unused:UNUSED_PAD src0_sel:DWORD src1_sel:WORD_1
	v_pk_add_f16 v15, v8, v1 neg_lo:[0,1] neg_hi:[0,1]
	v_pk_add_f16 v19, v1, v8
	v_mul_f16_sdwa v41, v15, s21 dst_sel:DWORD dst_unused:UNUSED_PAD src0_sel:WORD_1 src1_sel:DWORD
	v_fma_f16 v21, v19, s9, v41
	v_lshrrev_b32_e32 v30, 16, v19
	s_mov_b32 s11, 0xb5ac
	v_mul_f16_e32 v46, 0xbb7b, v15
	v_add_f16_e32 v22, v21, v18
	v_fma_f16 v18, v30, s11, -v46
	v_add_f16_e32 v20, v18, v20
	v_pk_add_f16 v18, v9, v0 neg_lo:[0,1] neg_hi:[0,1]
	s_mov_b32 s22, 0xbbf1
	v_pk_add_f16 v21, v0, v9
	s_movk_i32 s14, 0x2fb7
	v_mul_f16_sdwa v43, v18, s22 dst_sel:DWORD dst_unused:UNUSED_PAD src0_sel:WORD_1 src1_sel:DWORD
	v_fma_f16 v23, v21, s14, v43
	v_lshrrev_b32_e32 v31, 16, v21
	s_mov_b32 s15, 0xbbc4
	v_mul_f16_e32 v48, 0xb3a8, v18
	v_add_f16_e32 v24, v23, v22
	v_fma_f16 v22, v31, s15, -v48
	s_mov_b32 s10, 0xbb7b
	v_add_f16_e32 v20, v22, v20
	v_pk_add_f16 v22, v10, v7 neg_lo:[0,1] neg_hi:[0,1]
	v_pk_add_f16 v23, v7, v10
	v_mul_f16_sdwa v45, v22, s10 dst_sel:DWORD dst_unused:UNUSED_PAD src0_sel:WORD_1 src1_sel:DWORD
	v_fma_f16 v25, v23, s11, v45
	v_lshrrev_b32_e32 v34, 16, v23
	s_mov_b32 s17, 0xb9fd
	v_mul_f16_e32 v50, 0x394e, v22
	v_add_f16_e32 v25, v25, v24
	v_fma_f16 v24, v34, s17, -v50
	v_add_f16_e32 v20, v24, v20
	s_mov_b32 s16, 0xb94e
	v_pk_add_f16 v24, v11, v6 neg_lo:[0,1] neg_hi:[0,1]
	v_pk_add_f16 v26, v6, v11
	v_mul_f16_sdwa v47, v24, s16 dst_sel:DWORD dst_unused:UNUSED_PAD src0_sel:WORD_1 src1_sel:DWORD
	v_fma_f16 v27, v26, s17, v47
	v_lshrrev_b32_e32 v36, 16, v26
	v_mul_f16_e32 v51, 0x3bf1, v24
	v_add_f16_e32 v25, v27, v25
	v_fma_f16 v27, v36, s14, -v51
	v_add_f16_e32 v20, v27, v20
	s_mov_b32 s18, 0xb3a8
	v_pk_add_f16 v27, v4, v5 neg_lo:[0,1] neg_hi:[0,1]
	v_pk_add_f16 v29, v5, v4
	v_mul_f16_sdwa v49, v27, s18 dst_sel:DWORD dst_unused:UNUSED_PAD src0_sel:WORD_1 src1_sel:DWORD
	v_fma_f16 v37, v29, s15, v49
	v_lshrrev_b32_e32 v42, 16, v29
	v_mul_f16_e32 v52, 0x3770, v27
	v_add_f16_e32 v38, v37, v25
	v_fma_f16 v25, v42, s8, -v52
	s_mov_b32 s4, 0x3b15388b
	v_add_f16_e32 v25, v25, v20
	s_mov_b32 s5, 0xba95b770
	v_pk_mul_f16 v20, v17, s4
	s_mov_b32 s4, 0x388bb5ac
	v_pk_fma_f16 v53, v14, s5, v20 op_sel:[0,0,1] op_sel_hi:[1,1,0] neg_lo:[1,0,0] neg_hi:[1,0,0]
	v_pk_fma_f16 v54, v14, s5, v20 op_sel:[0,0,1] op_sel_hi:[1,1,0]
	s_mov_b32 s5, 0xbb7bba95
	v_pk_mul_f16 v20, v19, s4
	s_mov_b32 s4, 0x2fb7bbc4
	v_pk_fma_f16 v55, v15, s5, v20 op_sel:[0,0,1] op_sel_hi:[1,1,0] neg_lo:[1,0,0] neg_hi:[1,0,0]
	v_pk_fma_f16 v56, v15, s5, v20 op_sel:[0,0,1] op_sel_hi:[1,1,0]
	;; [unrolled: 5-line block ×4, first 2 shown]
	s_mov_b32 s5, 0x3bf1b94e
	v_pk_mul_f16 v20, v26, s4
	v_pk_fma_f16 v61, v24, s5, v20 op_sel:[0,0,1] op_sel_hi:[1,1,0] neg_lo:[1,0,0] neg_hi:[1,0,0]
	v_pk_fma_f16 v62, v24, s5, v20 op_sel:[0,0,1] op_sel_hi:[1,1,0]
	v_add_f16_sdwa v20, v53, v2 dst_sel:DWORD dst_unused:UNUSED_PAD src0_sel:DWORD src1_sel:WORD_1
	v_add_f16_e32 v20, v55, v20
	s_mov_b32 s4, 0xbbc43b15
	v_add_f16_e32 v20, v57, v20
	s_mov_b32 s5, 0x3770b3a8
	v_add_f16_e32 v20, v59, v20
	v_pk_mul_f16 v37, v29, s4
	v_add_f16_e32 v20, v61, v20
	v_pk_fma_f16 v63, v27, s5, v37 op_sel:[0,0,1] op_sel_hi:[1,1,0] neg_lo:[1,0,0] neg_hi:[1,0,0]
	v_add_f16_e32 v39, v63, v20
	v_add_f16_sdwa v20, v54, v2 dst_sel:DWORD dst_unused:UNUSED_PAD src0_sel:WORD_1 src1_sel:DWORD
	v_add_f16_sdwa v20, v56, v20 dst_sel:DWORD dst_unused:UNUSED_PAD src0_sel:WORD_1 src1_sel:DWORD
	;; [unrolled: 1-line block ×4, first 2 shown]
	v_pk_fma_f16 v64, v27, s5, v37 op_sel:[0,0,1] op_sel_hi:[1,1,0]
	v_add_f16_sdwa v20, v62, v20 dst_sel:DWORD dst_unused:UNUSED_PAD src0_sel:WORD_1 src1_sel:DWORD
	s_movk_i32 s23, 0x394e
	s_movk_i32 s19, 0x3bf1
	s_movk_i32 s20, 0x3770
	v_add_f16_sdwa v20, v64, v20 dst_sel:DWORD dst_unused:UNUSED_PAD src0_sel:WORD_1 src1_sel:DWORD
	v_mul_lo_u16_e32 v37, 13, v33
	s_barrier
	s_and_saveexec_b64 s[4:5], vcc
	s_cbranch_execz .LBB0_7
; %bb.6:
	v_mul_f16_e32 v65, 0xb94e, v14
	v_fma_f16 v66, v28, s17, v65
	v_mul_f16_e32 v67, 0x3bf1, v15
	v_add_f16_sdwa v66, v66, v2 dst_sel:DWORD dst_unused:UNUSED_PAD src0_sel:DWORD src1_sel:WORD_1
	v_fma_f16 v68, v30, s14, v67
	v_add_f16_e32 v66, v68, v66
	v_mul_f16_e32 v68, 0xba95, v18
	v_fma_f16 v69, v31, s9, v68
	v_add_f16_e32 v66, v69, v66
	v_mul_f16_e32 v69, 0x33a8, v22
	;; [unrolled: 3-line block ×4, first 2 shown]
	v_fma_f16 v72, v42, s11, v71
	v_add_f16_e32 v66, v72, v66
	v_mul_f16_sdwa v72, v14, s16 dst_sel:DWORD dst_unused:UNUSED_PAD src0_sel:WORD_1 src1_sel:DWORD
	v_fma_f16 v73, v17, s17, -v72
	v_mul_f16_sdwa v74, v15, s19 dst_sel:DWORD dst_unused:UNUSED_PAD src0_sel:WORD_1 src1_sel:DWORD
	v_add_f16_e32 v73, v73, v2
	v_fma_f16 v75, v19, s14, -v74
	v_add_f16_e32 v73, v75, v73
	v_mul_f16_sdwa v75, v18, s21 dst_sel:DWORD dst_unused:UNUSED_PAD src0_sel:WORD_1 src1_sel:DWORD
	s_movk_i32 s24, 0x33a8
	v_fma_f16 v76, v21, s9, -v75
	v_add_f16_e32 v73, v76, v73
	v_mul_f16_sdwa v76, v22, s24 dst_sel:DWORD dst_unused:UNUSED_PAD src0_sel:WORD_1 src1_sel:DWORD
	v_fma_f16 v77, v23, s15, -v76
	v_add_f16_e32 v73, v77, v73
	v_mul_f16_sdwa v77, v24, s20 dst_sel:DWORD dst_unused:UNUSED_PAD src0_sel:WORD_1 src1_sel:DWORD
	;; [unrolled: 3-line block ×3, first 2 shown]
	v_fma_f16 v79, v29, s11, -v78
	v_add_f16_e32 v73, v79, v73
	v_mul_f16_e32 v79, 0xbb7b, v14
	v_fma_f16 v80, v28, s11, v79
	v_mul_f16_e32 v81, 0x394e, v15
	v_add_f16_sdwa v80, v80, v2 dst_sel:DWORD dst_unused:UNUSED_PAD src0_sel:DWORD src1_sel:WORD_1
	v_fma_f16 v82, v30, s17, v81
	v_add_f16_e32 v80, v82, v80
	v_mul_f16_e32 v82, 0x3770, v18
	v_fma_f16 v83, v31, s8, v82
	v_add_f16_e32 v80, v83, v80
	v_mul_f16_e32 v83, 0xbbf1, v22
	;; [unrolled: 3-line block ×4, first 2 shown]
	v_fma_f16 v86, v42, s9, v85
	v_add_f16_e32 v80, v86, v80
	v_mul_f16_sdwa v86, v14, s10 dst_sel:DWORD dst_unused:UNUSED_PAD src0_sel:WORD_1 src1_sel:DWORD
	v_fma_f16 v87, v17, s11, -v86
	v_mul_f16_sdwa v88, v15, s23 dst_sel:DWORD dst_unused:UNUSED_PAD src0_sel:WORD_1 src1_sel:DWORD
	v_add_f16_e32 v87, v87, v2
	v_fma_f16 v89, v19, s17, -v88
	v_add_f16_e32 v87, v89, v87
	v_mul_f16_sdwa v89, v18, s20 dst_sel:DWORD dst_unused:UNUSED_PAD src0_sel:WORD_1 src1_sel:DWORD
	v_fma_f16 v90, v21, s8, -v89
	v_add_f16_e32 v87, v90, v87
	v_mul_f16_sdwa v90, v22, s22 dst_sel:DWORD dst_unused:UNUSED_PAD src0_sel:WORD_1 src1_sel:DWORD
	;; [unrolled: 3-line block ×3, first 2 shown]
	v_fma_f16 v92, v26, s15, -v91
	s_movk_i32 s23, 0x3a95
	v_add_f16_e32 v87, v92, v87
	v_mul_f16_sdwa v92, v27, s23 dst_sel:DWORD dst_unused:UNUSED_PAD src0_sel:WORD_1 src1_sel:DWORD
	v_fma_f16 v93, v29, s9, -v92
	v_add_f16_e32 v87, v93, v87
	v_mul_f16_e32 v93, 0xbbf1, v14
	v_fma_f16 v94, v28, s14, v93
	v_mul_f16_e32 v95, 0xb3a8, v15
	v_add_f16_sdwa v94, v94, v2 dst_sel:DWORD dst_unused:UNUSED_PAD src0_sel:DWORD src1_sel:WORD_1
	v_fma_f16 v96, v30, s15, v95
	v_add_f16_e32 v94, v96, v94
	v_mul_f16_e32 v96, 0x3b7b, v18
	v_fma_f16 v97, v31, s11, v96
	v_add_f16_e32 v94, v97, v94
	v_mul_f16_e32 v97, 0x3770, v22
	;; [unrolled: 3-line block ×4, first 2 shown]
	v_fma_f16 v100, v42, s17, v99
	v_add_f16_e32 v94, v100, v94
	v_mul_f16_sdwa v100, v14, s22 dst_sel:DWORD dst_unused:UNUSED_PAD src0_sel:WORD_1 src1_sel:DWORD
	v_fma_f16 v101, v17, s14, -v100
	v_mul_f16_sdwa v102, v15, s18 dst_sel:DWORD dst_unused:UNUSED_PAD src0_sel:WORD_1 src1_sel:DWORD
	v_add_f16_e32 v101, v101, v2
	v_fma_f16 v103, v19, s15, -v102
	s_movk_i32 s22, 0x3b7b
	v_add_f16_e32 v101, v103, v101
	v_mul_f16_sdwa v103, v18, s22 dst_sel:DWORD dst_unused:UNUSED_PAD src0_sel:WORD_1 src1_sel:DWORD
	v_fma_f16 v104, v21, s11, -v103
	v_add_f16_e32 v101, v104, v101
	v_mul_f16_sdwa v104, v22, s20 dst_sel:DWORD dst_unused:UNUSED_PAD src0_sel:WORD_1 src1_sel:DWORD
	v_fma_f16 v105, v23, s8, -v104
	;; [unrolled: 3-line block ×4, first 2 shown]
	v_add_f16_e32 v101, v107, v101
	v_mul_f16_e32 v107, 0x388b, v28
	v_add_f16_e32 v44, v44, v107
	v_mul_f16_e32 v107, 0xb5ac, v30
	v_add_f16_e32 v46, v46, v107
	v_add_f16_sdwa v44, v44, v2 dst_sel:DWORD dst_unused:UNUSED_PAD src0_sel:DWORD src1_sel:WORD_1
	v_add_f16_e32 v44, v46, v44
	v_mul_f16_e32 v46, 0xbbc4, v31
	v_add_f16_e32 v46, v48, v46
	v_add_f16_e32 v44, v46, v44
	v_mul_f16_e32 v46, 0xb9fd, v34
	v_add_f16_e32 v46, v50, v46
	;; [unrolled: 3-line block ×4, first 2 shown]
	s_mov_b32 s21, 0xffff
	v_add_f16_e32 v44, v46, v44
	v_bfi_b32 v46, s21, v54, v53
	v_mul_f16_e32 v54, 0x3b15, v17
	v_sub_f16_e32 v40, v54, v40
	v_mul_f16_e32 v54, 0x388b, v19
	v_sub_f16_e32 v41, v54, v41
	v_add_f16_e32 v40, v40, v2
	v_add_f16_e32 v40, v41, v40
	v_mul_f16_e32 v41, 0x2fb7, v21
	v_sub_f16_e32 v41, v41, v43
	v_add_f16_e32 v40, v41, v40
	v_mul_f16_e32 v41, 0xb5ac, v23
	v_sub_f16_e32 v41, v41, v45
	;; [unrolled: 3-line block ×4, first 2 shown]
	v_add_f16_e32 v40, v41, v40
	v_fma_f16 v41, v28, s17, -v65
	v_add_f16_sdwa v41, v41, v2 dst_sel:DWORD dst_unused:UNUSED_PAD src0_sel:DWORD src1_sel:WORD_1
	v_fma_f16 v43, v30, s14, -v67
	v_add_f16_e32 v41, v43, v41
	v_fma_f16 v43, v31, s9, -v68
	v_add_f16_e32 v41, v43, v41
	;; [unrolled: 2-line block ×5, first 2 shown]
	v_fma_f16 v43, v17, s17, v72
	v_add_f16_e32 v43, v43, v2
	v_fma_f16 v45, v19, s14, v74
	v_add_f16_e32 v43, v45, v43
	v_fma_f16 v45, v21, s9, v75
	v_add_f16_e32 v43, v45, v43
	v_fma_f16 v45, v23, s15, v76
	v_add_f16_e32 v43, v45, v43
	v_fma_f16 v45, v26, s8, v77
	v_add_f16_e32 v43, v45, v43
	v_alignbit_b32 v45, v2, v2, 16
	v_pk_add_f16 v3, v3, v45 op_sel:[0,1] op_sel_hi:[1,0]
	v_pk_add_f16 v3, v8, v3
	v_pk_add_f16 v3, v9, v3
	v_fma_f16 v47, v29, s11, v78
	v_pk_add_f16 v3, v10, v3
	v_add_f16_e32 v43, v47, v43
	v_fma_f16 v47, v28, s11, -v79
	v_fma_f16 v28, v28, s14, -v93
	v_pk_add_f16 v3, v11, v3
	v_add_f16_sdwa v47, v47, v2 dst_sel:DWORD dst_unused:UNUSED_PAD src0_sel:DWORD src1_sel:WORD_1
	v_fma_f16 v49, v30, s17, -v81
	v_add_f16_sdwa v28, v28, v2 dst_sel:DWORD dst_unused:UNUSED_PAD src0_sel:DWORD src1_sel:WORD_1
	v_fma_f16 v30, v30, s15, -v95
	v_pk_add_f16 v3, v4, v3
	v_add_f16_e32 v47, v49, v47
	v_fma_f16 v49, v31, s8, -v82
	v_add_f16_e32 v28, v30, v28
	v_fma_f16 v30, v31, s11, -v96
	v_pk_add_f16 v3, v5, v3
	v_add_f16_e32 v47, v49, v47
	v_fma_f16 v49, v34, s14, -v83
	v_add_f16_e32 v28, v30, v28
	;; [unrolled: 5-line block ×4, first 2 shown]
	v_fma_f16 v30, v42, s17, -v99
	v_pk_add_f16 v0, v0, v3
	v_bfi_b32 v48, s21, v56, v55
	v_add_f16_e32 v47, v49, v47
	v_fma_f16 v49, v17, s11, v86
	v_add_f16_e32 v28, v30, v28
	v_fma_f16 v30, v17, s14, v100
	v_pk_add_f16 v0, v1, v0
	v_pk_add_f16 v1, v46, v45
	v_bfi_b32 v50, s21, v58, v57
	v_add_f16_e32 v49, v49, v2
	v_add_f16_e32 v2, v30, v2
	v_fma_f16 v30, v19, s15, v102
	v_pk_add_f16 v1, v48, v1
	v_bfi_b32 v51, s21, v60, v59
	v_add_f16_e32 v2, v30, v2
	v_fma_f16 v30, v21, s11, v103
	v_pk_add_f16 v1, v50, v1
	v_bfi_b32 v52, s21, v62, v61
	;; [unrolled: 4-line block ×3, first 2 shown]
	v_add_f16_e32 v2, v30, v2
	v_fma_f16 v30, v26, s9, v105
	v_pk_add_f16 v1, v52, v1
	v_add_f16_e32 v2, v30, v2
	v_fma_f16 v30, v29, s17, v106
	v_pk_add_f16 v1, v53, v1
	v_add_f16_e32 v2, v30, v2
	v_add_lshl_u32 v30, v12, v37, 2
	v_alignbit_b32 v3, v44, v1, 16
	v_pack_b32_f16 v1, v40, v1
	ds_write2_b32 v30, v1, v3 offset0:1 offset1:2
	v_pack_b32_f16 v1, v87, v80
	v_pack_b32_f16 v3, v101, v94
	v_pk_add_f16 v0, v13, v0
	ds_write2_b32 v30, v3, v1 offset0:3 offset1:4
	v_pack_b32_f16 v1, v73, v66
	ds_write2_b32 v30, v0, v1 offset1:5
	v_pk_mul_f16 v0, v17, s15 op_sel_hi:[1,0]
	v_pk_fma_f16 v1, v14, s18, v0 op_sel:[0,0,1] op_sel_hi:[1,0,0] neg_lo:[1,0,0] neg_hi:[1,0,0]
	v_pk_mul_f16 v3, v19, s8 op_sel_hi:[1,0]
	v_pk_add_f16 v1, v1, v45
	v_pk_fma_f16 v4, v15, s20, v3 op_sel:[0,0,1] op_sel_hi:[1,0,0] neg_lo:[1,0,0] neg_hi:[1,0,0]
	v_pk_add_f16 v1, v4, v1
	v_pk_mul_f16 v4, v21, s17 op_sel_hi:[1,0]
	v_pk_fma_f16 v5, v18, s16, v4 op_sel:[0,0,1] op_sel_hi:[1,0,0] neg_lo:[1,0,0] neg_hi:[1,0,0]
	v_pk_add_f16 v1, v5, v1
	v_pk_mul_f16 v5, v23, s9 op_sel_hi:[1,0]
	v_pk_fma_f16 v0, v14, s18, v0 op_sel:[0,0,1] op_sel_hi:[1,0,0]
	v_pk_fma_f16 v6, v22, s23, v5 op_sel:[0,0,1] op_sel_hi:[1,0,0] neg_lo:[1,0,0] neg_hi:[1,0,0]
	v_pk_add_f16 v0, v0, v45
	v_pk_fma_f16 v3, v15, s20, v3 op_sel:[0,0,1] op_sel_hi:[1,0,0]
	v_fma_f16 v54, v19, s17, v88
	v_pk_add_f16 v1, v6, v1
	v_pk_mul_f16 v6, v26, s11 op_sel_hi:[1,0]
	v_pk_add_f16 v0, v3, v0
	v_pk_fma_f16 v3, v18, s16, v4 op_sel:[0,0,1] op_sel_hi:[1,0,0]
	v_add_f16_e32 v49, v54, v49
	v_fma_f16 v54, v21, s8, v89
	v_pk_fma_f16 v7, v24, s10, v6 op_sel:[0,0,1] op_sel_hi:[1,0,0] neg_lo:[1,0,0] neg_hi:[1,0,0]
	v_pk_add_f16 v0, v3, v0
	v_pk_fma_f16 v3, v22, s23, v5 op_sel:[0,0,1] op_sel_hi:[1,0,0]
	v_add_f16_e32 v49, v54, v49
	v_fma_f16 v54, v23, s14, v90
	v_pk_add_f16 v1, v7, v1
	v_pk_mul_f16 v7, v29, s14 op_sel_hi:[1,0]
	v_pk_add_f16 v0, v3, v0
	v_pk_fma_f16 v3, v24, s10, v6 op_sel:[0,0,1] op_sel_hi:[1,0,0]
	v_add_f16_e32 v49, v54, v49
	v_fma_f16 v54, v26, s15, v91
	v_pk_fma_f16 v8, v27, s19, v7 op_sel:[0,0,1] op_sel_hi:[1,0,0] neg_lo:[1,0,0] neg_hi:[1,0,0]
	v_pk_add_f16 v0, v3, v0
	v_pk_fma_f16 v3, v27, s19, v7 op_sel:[0,0,1] op_sel_hi:[1,0,0]
	v_add_f16_e32 v49, v54, v49
	v_fma_f16 v54, v29, s9, v92
	v_pk_add_f16 v1, v8, v1
	v_pk_add_f16 v0, v3, v0
	v_add_f16_e32 v49, v54, v49
	v_alignbit_b32 v3, v1, v0, 16
	v_alignbit_b32 v0, v0, v1, 16
	ds_write2_b32 v30, v0, v3 offset0:6 offset1:7
	v_pack_b32_f16 v0, v49, v47
	v_pack_b32_f16 v1, v43, v41
	s_mov_b32 s8, 0x5040100
	ds_write2_b32 v30, v1, v0 offset0:8 offset1:9
	v_pack_b32_f16 v0, v2, v28
	v_perm_b32 v1, v25, v20, s8
	ds_write2_b32 v30, v0, v1 offset0:10 offset1:11
	v_perm_b32 v0, v39, v38, s8
	ds_write_b32 v30, v0 offset:48
.LBB0_7:
	s_or_b64 exec, exec, s[4:5]
	s_load_dwordx4 s[8:11], s[0:1], 0x0
	s_movk_i32 s0, 0x4f
	v_mul_lo_u16_sdwa v0, v33, s0 dst_sel:DWORD dst_unused:UNUSED_PAD src0_sel:BYTE_0 src1_sel:DWORD
	v_lshrrev_b16_e32 v11, 10, v0
	v_mul_lo_u16_e32 v0, 13, v11
	v_sub_u16_e32 v15, v33, v0
	v_mov_b32_e32 v0, 10
	v_mul_u32_u24_sdwa v0, v15, v0 dst_sel:DWORD dst_unused:UNUSED_PAD src0_sel:BYTE_0 src1_sel:DWORD
	v_lshlrev_b32_e32 v8, 2, v0
	s_waitcnt lgkmcnt(0)
	s_barrier
	global_load_dwordx4 v[0:3], v8, s[2:3]
	global_load_dwordx4 v[4:7], v8, s[2:3] offset:16
	global_load_dwordx2 v[17:18], v8, s[2:3] offset:32
	v_add_lshl_u32 v36, v12, v33, 2
	ds_read2_b32 v[9:10], v36 offset1:78
	ds_read2_b32 v[13:14], v36 offset0:156 offset1:234
	v_add_u32_e32 v19, 0x600, v36
	v_add_u32_e32 v8, 0x400, v36
	;; [unrolled: 1-line block ×3, first 2 shown]
	ds_read_b32 v29, v36 offset:3120
	ds_read2_b32 v[21:22], v8 offset0:56 offset1:134
	ds_read2_b32 v[23:24], v19 offset0:84 offset1:162
	;; [unrolled: 1-line block ×3, first 2 shown]
	s_waitcnt lgkmcnt(5)
	v_lshrrev_b32_e32 v19, 16, v10
	s_waitcnt lgkmcnt(4)
	v_lshrrev_b32_e32 v30, 16, v13
	v_lshrrev_b32_e32 v31, 16, v14
	s_waitcnt lgkmcnt(2)
	v_lshrrev_b32_e32 v40, 16, v21
	;; [unrolled: 3-line block ×3, first 2 shown]
	v_lshrrev_b32_e32 v43, 16, v24
	v_lshrrev_b32_e32 v34, 16, v29
	s_waitcnt lgkmcnt(0)
	v_lshrrev_b32_e32 v44, 16, v26
	v_lshrrev_b32_e32 v45, 16, v27
	s_movk_i32 s4, 0x3abb
	s_movk_i32 s0, 0x36a6
	s_mov_b32 s1, 0xb08e
	s_mov_b32 s5, 0xb93d
	;; [unrolled: 1-line block ×3, first 2 shown]
	s_waitcnt vmcnt(0)
	s_barrier
	v_mul_f16_sdwa v47, v10, v0 dst_sel:DWORD dst_unused:UNUSED_PAD src0_sel:DWORD src1_sel:WORD_1
	v_mul_f16_sdwa v46, v19, v0 dst_sel:DWORD dst_unused:UNUSED_PAD src0_sel:DWORD src1_sel:WORD_1
	;; [unrolled: 1-line block ×3, first 2 shown]
	v_fma_f16 v19, v19, v0, v47
	v_mul_f16_sdwa v48, v30, v1 dst_sel:DWORD dst_unused:UNUSED_PAD src0_sel:DWORD src1_sel:WORD_1
	v_mul_f16_sdwa v51, v14, v2 dst_sel:DWORD dst_unused:UNUSED_PAD src0_sel:DWORD src1_sel:WORD_1
	v_fma_f16 v10, v10, v0, -v46
	v_fma_f16 v30, v30, v1, v49
	v_add_f16_sdwa v47, v9, v19 dst_sel:DWORD dst_unused:UNUSED_PAD src0_sel:WORD_1 src1_sel:DWORD
	v_mul_f16_sdwa v50, v31, v2 dst_sel:DWORD dst_unused:UNUSED_PAD src0_sel:DWORD src1_sel:WORD_1
	v_mul_f16_sdwa v53, v21, v3 dst_sel:DWORD dst_unused:UNUSED_PAD src0_sel:DWORD src1_sel:WORD_1
	v_fma_f16 v13, v13, v1, -v48
	v_fma_f16 v31, v31, v2, v51
	v_add_f16_e32 v46, v9, v10
	v_add_f16_e32 v47, v47, v30
	v_mul_f16_sdwa v52, v40, v3 dst_sel:DWORD dst_unused:UNUSED_PAD src0_sel:DWORD src1_sel:WORD_1
	v_mul_f16_sdwa v55, v22, v4 dst_sel:DWORD dst_unused:UNUSED_PAD src0_sel:DWORD src1_sel:WORD_1
	v_fma_f16 v14, v14, v2, -v50
	v_fma_f16 v40, v40, v3, v53
	v_add_f16_e32 v46, v46, v13
	v_add_f16_e32 v47, v47, v31
	;; [unrolled: 6-line block ×5, first 2 shown]
	v_mul_f16_sdwa v60, v44, v7 dst_sel:DWORD dst_unused:UNUSED_PAD src0_sel:DWORD src1_sel:WORD_1
	v_mul_f16_sdwa v63, v27, v17 dst_sel:DWORD dst_unused:UNUSED_PAD src0_sel:DWORD src1_sel:WORD_1
	;; [unrolled: 1-line block ×4, first 2 shown]
	v_fma_f16 v24, v24, v6, -v58
	v_fma_f16 v44, v44, v7, v61
	v_add_f16_e32 v46, v46, v23
	v_add_f16_e32 v47, v47, v43
	v_mul_f16_sdwa v62, v45, v17 dst_sel:DWORD dst_unused:UNUSED_PAD src0_sel:DWORD src1_sel:WORD_1
	v_fma_f16 v26, v26, v7, -v60
	v_fma_f16 v45, v45, v17, v63
	v_fma_f16 v29, v29, v18, -v64
	v_fma_f16 v34, v34, v18, v65
	v_add_f16_e32 v46, v46, v24
	v_add_f16_e32 v47, v47, v44
	v_fma_f16 v27, v27, v17, -v62
	v_add_f16_e32 v48, v10, v29
	v_add_f16_e32 v49, v19, v34
	v_sub_f16_e32 v10, v10, v29
	v_sub_f16_e32 v19, v19, v34
	v_add_f16_e32 v46, v46, v26
	v_add_f16_e32 v47, v47, v45
	;; [unrolled: 1-line block ×4, first 2 shown]
	v_mul_f16_e32 v34, 0xb853, v19
	v_mul_f16_e32 v50, 0xb853, v10
	;; [unrolled: 1-line block ×10, first 2 shown]
	v_add_f16_e32 v29, v46, v29
	v_fma_f16 v46, v48, s4, -v34
	v_fma_f16 v51, v49, s4, v50
	v_fma_f16 v34, v48, s4, v34
	v_fma_f16 v50, v49, s4, -v50
	v_fma_f16 v53, v48, s0, -v52
	v_fma_f16 v55, v49, s0, v54
	v_fma_f16 v52, v48, s0, v52
	v_fma_f16 v54, v49, s0, -v54
	;; [unrolled: 4-line block ×5, first 2 shown]
	v_add_f16_e32 v46, v9, v46
	v_add_f16_sdwa v51, v9, v51 dst_sel:DWORD dst_unused:UNUSED_PAD src0_sel:WORD_1 src1_sel:DWORD
	v_add_f16_e32 v34, v9, v34
	v_add_f16_sdwa v50, v9, v50 dst_sel:DWORD dst_unused:UNUSED_PAD src0_sel:WORD_1 src1_sel:DWORD
	;; [unrolled: 2-line block ×10, first 2 shown]
	v_add_f16_e32 v10, v13, v27
	v_sub_f16_e32 v13, v13, v27
	v_sub_f16_e32 v27, v30, v45
	v_add_f16_e32 v48, v30, v45
	v_mul_f16_e32 v30, 0xbb47, v27
	v_fma_f16 v45, v10, s0, -v30
	v_add_f16_e32 v45, v45, v46
	v_mul_f16_e32 v46, 0xbb47, v13
	v_fma_f16 v30, v10, s0, v30
	v_fma_f16 v49, v48, s0, v46
	v_add_f16_e32 v30, v30, v34
	v_fma_f16 v34, v48, s0, -v46
	v_mul_f16_e32 v46, 0xba0c, v27
	v_add_f16_e32 v49, v49, v51
	v_add_f16_e32 v34, v34, v50
	v_fma_f16 v50, v10, s5, -v46
	v_mul_f16_e32 v51, 0xba0c, v13
	v_fma_f16 v46, v10, s5, v46
	v_add_f16_e32 v50, v50, v53
	v_fma_f16 v53, v48, s5, v51
	v_add_f16_e32 v46, v46, v52
	v_fma_f16 v51, v48, s5, -v51
	v_mul_f16_e32 v52, 0x3482, v27
	v_add_f16_e32 v53, v53, v55
	v_add_f16_e32 v51, v51, v54
	v_fma_f16 v54, v10, s14, -v52
	v_mul_f16_e32 v55, 0x3482, v13
	v_fma_f16 v52, v10, s14, v52
	v_add_f16_e32 v54, v54, v57
	v_fma_f16 v57, v48, s14, v55
	v_add_f16_e32 v52, v52, v56
	v_fma_f16 v55, v48, s14, -v55
	v_mul_f16_e32 v56, 0x3beb, v27
	v_add_f16_e32 v57, v57, v59
	v_add_f16_e32 v55, v55, v58
	v_fma_f16 v58, v10, s1, -v56
	v_mul_f16_e32 v59, 0x3beb, v13
	v_add_f16_e32 v58, v58, v61
	v_fma_f16 v61, v48, s1, v59
	v_fma_f16 v59, v48, s1, -v59
	v_mul_f16_e32 v13, 0x3853, v13
	v_add_f16_e32 v59, v59, v62
	v_fma_f16 v62, v48, s4, v13
	v_fma_f16 v13, v48, s4, -v13
	v_fma_f16 v56, v10, s1, v56
	v_mul_f16_e32 v27, 0x3853, v27
	v_add_f16_e32 v9, v13, v9
	v_add_f16_e32 v13, v14, v26
	v_sub_f16_e32 v14, v14, v26
	v_sub_f16_e32 v26, v31, v44
	v_add_f16_e32 v56, v56, v60
	v_fma_f16 v60, v10, s4, -v27
	v_fma_f16 v10, v10, s4, v27
	v_mul_f16_e32 v27, 0xbbeb, v26
	v_add_f16_e32 v10, v10, v19
	v_add_f16_e32 v19, v31, v44
	v_fma_f16 v31, v13, s1, -v27
	v_mul_f16_e32 v44, 0xbbeb, v14
	v_fma_f16 v27, v13, s1, v27
	v_add_f16_e32 v27, v27, v30
	v_fma_f16 v30, v19, s1, -v44
	v_add_f16_e32 v30, v30, v34
	v_mul_f16_e32 v34, 0x3482, v26
	v_add_f16_e32 v31, v31, v45
	v_fma_f16 v45, v19, s1, v44
	v_fma_f16 v44, v13, s14, -v34
	v_mul_f16_e32 v48, 0x3482, v14
	v_fma_f16 v34, v13, s14, v34
	v_add_f16_e32 v45, v45, v49
	v_fma_f16 v49, v19, s14, v48
	v_add_f16_e32 v34, v34, v46
	v_fma_f16 v46, v19, s14, -v48
	v_mul_f16_e32 v48, 0x3b47, v26
	v_add_f16_e32 v44, v44, v50
	v_fma_f16 v50, v13, s0, -v48
	v_fma_f16 v48, v13, s0, v48
	v_add_f16_e32 v46, v46, v51
	v_mul_f16_e32 v51, 0x3b47, v14
	v_add_f16_e32 v48, v48, v52
	v_mul_f16_e32 v52, 0xb853, v26
	v_add_f16_e32 v49, v49, v53
	v_add_f16_e32 v50, v50, v54
	v_fma_f16 v53, v19, s0, v51
	v_fma_f16 v51, v19, s0, -v51
	v_fma_f16 v54, v13, s4, -v52
	v_fma_f16 v52, v13, s4, v52
	v_mul_f16_e32 v26, 0xba0c, v26
	v_add_f16_e32 v51, v51, v55
	v_mul_f16_e32 v55, 0xb853, v14
	v_add_f16_e32 v52, v52, v56
	v_fma_f16 v56, v13, s5, -v26
	v_mul_f16_e32 v14, 0xba0c, v14
	v_fma_f16 v13, v13, s5, v26
	v_add_f16_e32 v10, v13, v10
	v_fma_f16 v13, v19, s5, -v14
	v_add_f16_e32 v53, v53, v57
	v_add_f16_e32 v54, v54, v58
	v_fma_f16 v57, v19, s4, v55
	v_fma_f16 v55, v19, s4, -v55
	v_fma_f16 v58, v19, s5, v14
	v_add_f16_e32 v9, v13, v9
	v_add_f16_e32 v13, v21, v24
	v_sub_f16_e32 v19, v21, v24
	v_sub_f16_e32 v21, v40, v43
	v_mul_f16_e32 v24, 0xba0c, v21
	v_fma_f16 v26, v13, s5, -v24
	v_add_f16_e32 v14, v40, v43
	v_add_f16_e32 v26, v26, v31
	v_mul_f16_e32 v31, 0xba0c, v19
	v_fma_f16 v24, v13, s5, v24
	v_add_f16_e32 v24, v24, v27
	v_fma_f16 v27, v14, s5, -v31
	v_add_f16_e32 v27, v27, v30
	v_mul_f16_e32 v30, 0x3beb, v21
	v_fma_f16 v40, v14, s5, v31
	v_fma_f16 v31, v13, s1, -v30
	v_mul_f16_e32 v43, 0x3beb, v19
	v_fma_f16 v30, v13, s1, v30
	v_add_f16_e32 v31, v31, v44
	v_fma_f16 v44, v14, s1, v43
	v_add_f16_e32 v30, v30, v34
	v_fma_f16 v34, v14, s1, -v43
	v_mul_f16_e32 v43, 0xb853, v21
	v_add_f16_e32 v40, v40, v45
	v_add_f16_e32 v34, v34, v46
	v_fma_f16 v45, v13, s4, -v43
	v_mul_f16_e32 v46, 0xb853, v19
	v_fma_f16 v43, v13, s4, v43
	v_add_f16_e32 v48, v43, v48
	v_fma_f16 v43, v14, s4, -v46
	v_add_f16_e32 v44, v44, v49
	v_fma_f16 v49, v14, s4, v46
	v_add_f16_e32 v46, v43, v51
	v_mul_f16_e32 v43, 0xb482, v21
	v_add_f16_e32 v45, v45, v50
	v_fma_f16 v50, v13, s14, -v43
	v_mul_f16_e32 v51, 0xb482, v19
	v_fma_f16 v43, v13, s14, v43
	v_add_f16_e32 v60, v60, v64
	v_add_f16_e32 v55, v55, v59
	v_add_f16_e32 v52, v43, v52
	v_fma_f16 v43, v14, s14, -v51
	v_mul_f16_e32 v21, 0x3b47, v21
	v_add_f16_e32 v56, v56, v60
	v_add_f16_e32 v49, v49, v53
	v_fma_f16 v53, v14, s14, v51
	v_add_f16_e32 v51, v43, v55
	v_fma_f16 v43, v13, s0, -v21
	v_mul_f16_e32 v19, 0x3b47, v19
	v_fma_f16 v13, v13, s0, v21
	v_add_f16_e32 v50, v50, v54
	v_add_f16_e32 v54, v43, v56
	v_fma_f16 v43, v14, s0, v19
	v_add_f16_e32 v10, v13, v10
	v_fma_f16 v13, v14, s0, -v19
	v_add_f16_e32 v14, v41, v42
	v_sub_f16_e32 v41, v41, v42
	v_add_f16_e32 v9, v13, v9
	v_add_f16_e32 v13, v22, v23
	v_mul_f16_e32 v19, 0xb482, v41
	v_sub_f16_e32 v23, v22, v23
	v_fma_f16 v21, v13, s14, -v19
	v_add_f16_e32 v62, v62, v65
	v_add_f16_e32 v42, v21, v26
	v_mul_f16_e32 v21, 0xb482, v23
	v_add_f16_e32 v58, v58, v62
	v_fma_f16 v22, v14, s14, v21
	v_fma_f16 v21, v14, s14, -v21
	v_add_f16_e32 v55, v43, v58
	v_add_f16_e32 v43, v21, v27
	v_mul_f16_e32 v21, 0x3853, v41
	v_add_f16_e32 v40, v22, v40
	v_fma_f16 v19, v13, s14, v19
	v_fma_f16 v22, v13, s4, -v21
	v_mul_f16_e32 v26, 0x3853, v23
	v_add_f16_e32 v19, v19, v24
	v_add_f16_e32 v24, v22, v31
	v_fma_f16 v22, v14, s4, v26
	v_fma_f16 v21, v13, s4, v21
	v_add_f16_e32 v31, v22, v44
	v_add_f16_e32 v22, v21, v30
	v_fma_f16 v21, v14, s4, -v26
	v_add_f16_e32 v44, v21, v34
	v_mul_f16_e32 v21, 0xba0c, v41
	v_fma_f16 v26, v13, s5, -v21
	v_add_f16_e32 v30, v26, v45
	v_mul_f16_e32 v26, 0xba0c, v23
	v_fma_f16 v27, v14, s5, v26
	v_fma_f16 v26, v14, s5, -v26
	v_add_f16_e32 v61, v61, v63
	v_add_f16_e32 v45, v26, v46
	v_mul_f16_e32 v26, 0x3b47, v41
	v_add_f16_e32 v57, v57, v61
	v_add_f16_e32 v49, v27, v49
	v_fma_f16 v21, v13, s5, v21
	v_fma_f16 v27, v13, s0, -v26
	v_mul_f16_e32 v34, 0x3b47, v23
	v_add_f16_e32 v53, v53, v57
	v_add_f16_e32 v21, v21, v48
	;; [unrolled: 1-line block ×3, first 2 shown]
	v_fma_f16 v27, v14, s0, v34
	v_fma_f16 v26, v13, s0, v26
	v_add_f16_e32 v50, v27, v53
	v_add_f16_e32 v27, v26, v52
	v_fma_f16 v26, v14, s0, -v34
	v_add_f16_e32 v46, v26, v51
	v_mul_f16_e32 v26, 0xbbeb, v41
	v_fma_f16 v34, v13, s1, -v26
	v_mul_f16_e32 v23, 0xbbeb, v23
	v_fma_f16 v13, v13, s1, v26
	v_add_f16_e32 v51, v34, v54
	v_fma_f16 v34, v14, s1, v23
	v_add_f16_e32 v26, v13, v10
	v_fma_f16 v10, v14, s1, -v23
	v_add_f16_e32 v52, v34, v55
	v_add_f16_e32 v34, v10, v9
	v_mul_u32_u24_e32 v9, 0x8f, v11
	v_add_u32_sdwa v9, v9, v15 dst_sel:DWORD dst_unused:UNUSED_PAD src0_sel:DWORD src1_sel:BYTE_0
	v_add_lshl_u32 v41, v12, v9, 2
	v_pack_b32_f16 v9, v29, v47
	v_pack_b32_f16 v10, v42, v40
	ds_write2_b32 v41, v9, v10 offset1:13
	v_pack_b32_f16 v9, v24, v31
	v_pack_b32_f16 v10, v30, v49
	ds_write2_b32 v41, v9, v10 offset0:26 offset1:39
	v_pack_b32_f16 v9, v48, v50
	v_pack_b32_f16 v10, v51, v52
	ds_write2_b32 v41, v9, v10 offset0:52 offset1:65
	;; [unrolled: 3-line block ×4, first 2 shown]
	v_pack_b32_f16 v9, v19, v43
	ds_write_b32 v41, v9 offset:520
	s_waitcnt lgkmcnt(0)
	s_barrier
	ds_read2_b32 v[23:24], v36 offset1:143
	ds_read2_b32 v[30:31], v8 offset0:30 offset1:173
	ds_read2_b32 v[28:29], v28 offset0:60 offset1:203
	s_movk_i32 s0, 0x41
	v_cmp_gt_u16_e64 s[0:1], s0, v33
	s_and_saveexec_b64 s[4:5], s[0:1]
	s_cbranch_execz .LBB0_9
; %bb.8:
	ds_read2_b32 v[26:27], v36 offset0:78 offset1:221
	ds_read2_b32 v[21:22], v8 offset0:108 offset1:251
	v_add_u32_e32 v8, 0xa00, v36
	ds_read2_b32 v[19:20], v8 offset0:10 offset1:153
	s_waitcnt lgkmcnt(2)
	v_lshrrev_b32_e32 v34, 16, v26
	v_lshrrev_b32_e32 v46, 16, v27
	s_waitcnt lgkmcnt(1)
	v_lshrrev_b32_e32 v45, 16, v21
	v_lshrrev_b32_e32 v44, 16, v22
	;; [unrolled: 3-line block ×3, first 2 shown]
.LBB0_9:
	s_or_b64 exec, exec, s[4:5]
	v_mad_u64_u32 v[8:9], s[4:5], v33, 20, s[2:3]
	v_add_u32_e32 v10, 0x4e, v33
	v_add_u32_e32 v11, 0xffffffbf, v33
	v_cndmask_b32_e64 v10, v11, v10, s[0:1]
	v_mul_hi_i32_i24_e32 v11, 20, v10
	v_mul_i32_i24_e32 v10, 20, v10
	v_mov_b32_e32 v40, s3
	v_add_co_u32_e64 v47, s[2:3], s2, v10
	global_load_dwordx4 v[12:15], v[8:9], off offset:520
	global_load_dword v42, v[8:9], off offset:536
	v_addc_co_u32_e64 v48, s[2:3], v40, v11, s[2:3]
	global_load_dwordx4 v[8:11], v[47:48], off offset:520
	global_load_dword v40, v[47:48], off offset:536
	s_waitcnt lgkmcnt(1)
	v_lshrrev_b32_e32 v49, 16, v30
	s_waitcnt lgkmcnt(0)
	v_lshrrev_b32_e32 v51, 16, v28
	v_lshrrev_b32_e32 v48, 16, v24
	v_lshrrev_b32_e32 v50, 16, v31
	v_lshrrev_b32_e32 v52, 16, v29
	v_lshrrev_b32_e32 v47, 16, v23
	s_movk_i32 s2, 0x3aee
	s_mov_b32 s3, 0xbaee
	s_waitcnt vmcnt(3)
	v_mul_f16_sdwa v55, v49, v13 dst_sel:DWORD dst_unused:UNUSED_PAD src0_sel:DWORD src1_sel:WORD_1
	v_mul_f16_sdwa v59, v51, v15 dst_sel:DWORD dst_unused:UNUSED_PAD src0_sel:DWORD src1_sel:WORD_1
	;; [unrolled: 1-line block ×6, first 2 shown]
	s_waitcnt vmcnt(2)
	v_mul_f16_sdwa v62, v29, v42 dst_sel:DWORD dst_unused:UNUSED_PAD src0_sel:DWORD src1_sel:WORD_1
	s_waitcnt vmcnt(1)
	v_mul_f16_sdwa v65, v45, v9 dst_sel:DWORD dst_unused:UNUSED_PAD src0_sel:DWORD src1_sel:WORD_1
	;; [unrolled: 2-line block ×3, first 2 shown]
	v_fma_f16 v30, v30, v13, -v55
	v_fma_f16 v28, v28, v15, -v59
	v_mul_f16_sdwa v53, v48, v12 dst_sel:DWORD dst_unused:UNUSED_PAD src0_sel:DWORD src1_sel:WORD_1
	v_mul_f16_sdwa v57, v50, v14 dst_sel:DWORD dst_unused:UNUSED_PAD src0_sel:DWORD src1_sel:WORD_1
	;; [unrolled: 1-line block ×7, first 2 shown]
	v_fma_f16 v48, v48, v12, v54
	v_fma_f16 v49, v49, v13, v56
	;; [unrolled: 1-line block ×5, first 2 shown]
	v_fma_f16 v54, v21, v9, -v65
	v_fma_f16 v58, v20, v40, -v71
	v_add_f16_e32 v20, v23, v30
	v_add_f16_e32 v21, v30, v28
	v_mul_f16_sdwa v64, v27, v8 dst_sel:DWORD dst_unused:UNUSED_PAD src0_sel:DWORD src1_sel:WORD_1
	v_fma_f16 v24, v24, v12, -v53
	v_fma_f16 v31, v31, v14, -v57
	;; [unrolled: 1-line block ×4, first 2 shown]
	v_fma_f16 v57, v44, v10, v68
	v_fma_f16 v59, v25, v40, v72
	v_sub_f16_e32 v22, v49, v51
	v_add_f16_e32 v25, v47, v49
	v_add_f16_e32 v44, v49, v51
	v_sub_f16_e32 v30, v30, v28
	v_sub_f16_e32 v49, v50, v52
	v_add_f16_e32 v60, v48, v50
	v_add_f16_e32 v50, v50, v52
	v_add_f16_e32 v28, v20, v28
	v_fma_f16 v20, v21, -0.5, v23
	v_mul_f16_sdwa v63, v46, v8 dst_sel:DWORD dst_unused:UNUSED_PAD src0_sel:DWORD src1_sel:WORD_1
	v_fma_f16 v53, v46, v8, v64
	v_fma_f16 v55, v45, v9, v66
	v_add_f16_e32 v45, v24, v31
	v_add_f16_e32 v46, v31, v29
	;; [unrolled: 1-line block ×3, first 2 shown]
	v_fma_f16 v25, v50, -0.5, v48
	v_fma_f16 v48, v22, s2, v20
	v_fma_f16 v50, v22, s3, v20
	v_sub_f16_e32 v20, v31, v29
	v_fma_f16 v21, v44, -0.5, v47
	v_add_f16_e32 v23, v45, v29
	v_fma_f16 v24, v46, -0.5, v24
	v_fma_f16 v29, v20, s3, v25
	v_add_f16_e32 v47, v60, v52
	v_fma_f16 v52, v30, s3, v21
	v_fma_f16 v30, v30, s2, v21
	;; [unrolled: 1-line block ×4, first 2 shown]
	v_mul_f16_e32 v21, 0x3aee, v29
	v_mul_f16_sdwa v69, v43, v11 dst_sel:DWORD dst_unused:UNUSED_PAD src0_sel:DWORD src1_sel:WORD_1
	v_fma_f16 v25, v20, s2, v25
	v_fma_f16 v31, v45, 0.5, v21
	v_mul_f16_e32 v22, -0.5, v24
	v_mul_f16_e32 v45, 0xbaee, v45
	v_mul_f16_sdwa v70, v19, v11 dst_sel:DWORD dst_unused:UNUSED_PAD src0_sel:DWORD src1_sel:WORD_1
	v_fma_f16 v19, v19, v11, -v69
	v_add_f16_e32 v20, v28, v23
	v_fma_f16 v49, v25, s2, v22
	v_fma_f16 v29, v29, 0.5, v45
	v_mul_f16_e32 v25, -0.5, v25
	v_sub_f16_e32 v23, v28, v23
	v_add_f16_e32 v28, v26, v54
	v_fma_f16 v43, v43, v11, v70
	v_add_f16_e32 v21, v48, v31
	v_add_f16_e32 v45, v52, v29
	v_fma_f16 v60, v24, s3, v25
	v_sub_f16_e32 v24, v48, v31
	v_sub_f16_e32 v48, v52, v29
	v_add_f16_e32 v29, v28, v19
	v_add_f16_e32 v28, v54, v19
	v_fma_f16 v26, v28, -0.5, v26
	v_sub_f16_e32 v28, v55, v43
	v_add_f16_e32 v22, v50, v49
	v_add_f16_e32 v46, v30, v60
	v_sub_f16_e32 v25, v50, v49
	v_sub_f16_e32 v49, v30, v60
	v_fma_f16 v30, v28, s2, v26
	v_fma_f16 v31, v28, s3, v26
	v_add_f16_e32 v26, v34, v55
	v_add_f16_e32 v60, v26, v43
	v_add_f16_e32 v26, v55, v43
	v_fma_f16 v27, v27, v8, -v63
	v_fma_f16 v26, v26, -0.5, v34
	v_sub_f16_e32 v19, v54, v19
	v_fma_f16 v34, v19, s3, v26
	v_fma_f16 v19, v19, s2, v26
	v_add_f16_e32 v26, v27, v56
	v_add_f16_e32 v43, v26, v58
	;; [unrolled: 1-line block ×3, first 2 shown]
	v_fma_f16 v26, v26, -0.5, v27
	v_sub_f16_e32 v27, v57, v59
	v_add_f16_e32 v44, v51, v47
	v_sub_f16_e32 v47, v51, v47
	v_fma_f16 v51, v27, s2, v26
	v_fma_f16 v52, v27, s3, v26
	v_add_f16_e32 v26, v53, v57
	v_add_f16_e32 v54, v26, v59
	;; [unrolled: 1-line block ×3, first 2 shown]
	v_fma_f16 v26, v26, -0.5, v53
	v_sub_f16_e32 v27, v56, v58
	v_fma_f16 v53, v27, s3, v26
	v_fma_f16 v55, v27, s2, v26
	v_mul_f16_e32 v27, 0x3aee, v53
	v_fma_f16 v56, v51, 0.5, v27
	v_mul_f16_e32 v51, 0xbaee, v51
	v_mul_f16_e32 v28, -0.5, v52
	v_fma_f16 v58, v53, 0.5, v51
	v_mul_f16_e32 v53, -0.5, v55
	v_fma_f16 v57, v55, s2, v28
	v_fma_f16 v55, v52, s3, v53
	v_add_f16_e32 v26, v29, v43
	v_add_f16_e32 v50, v60, v54
	;; [unrolled: 1-line block ×4, first 2 shown]
	v_sub_f16_e32 v29, v29, v43
	v_sub_f16_e32 v53, v60, v54
	;; [unrolled: 1-line block ×4, first 2 shown]
	v_lshl_add_u32 v34, v33, 2, v35
	v_pack_b32_f16 v19, v20, v44
	v_pack_b32_f16 v43, v21, v45
	v_add_f16_e32 v27, v30, v56
	v_sub_f16_e32 v30, v30, v56
	ds_write2_b32 v34, v19, v43 offset1:143
	v_pack_b32_f16 v19, v22, v46
	v_pack_b32_f16 v43, v23, v47
	v_add_u32_e32 v56, 0x400, v34
	v_add_f16_e32 v28, v31, v57
	v_sub_f16_e32 v31, v31, v57
	ds_write2_b32 v56, v19, v43 offset0:30 offset1:173
	v_pack_b32_f16 v19, v24, v48
	v_pack_b32_f16 v43, v25, v49
	v_add_u32_e32 v56, 0x800, v34
	ds_write2_b32 v56, v19, v43 offset0:60 offset1:203
	s_and_saveexec_b64 s[2:3], s[0:1]
	s_cbranch_execz .LBB0_11
; %bb.10:
	s_mov_b32 s4, 0x5040100
	v_perm_b32 v19, v50, v26, s4
	v_perm_b32 v43, v51, v27, s4
	ds_write2_b32 v34, v19, v43 offset0:78 offset1:221
	v_perm_b32 v19, v52, v28, s4
	v_perm_b32 v43, v53, v29, s4
	v_add_u32_e32 v56, 0x400, v34
	ds_write2_b32 v56, v19, v43 offset0:108 offset1:251
	v_perm_b32 v19, v54, v30, s4
	v_perm_b32 v43, v55, v31, s4
	v_add_u32_e32 v56, 0xa00, v34
	ds_write2_b32 v56, v19, v43 offset0:10 offset1:153
.LBB0_11:
	s_or_b64 exec, exec, s[2:3]
	s_waitcnt lgkmcnt(0)
	s_barrier
	s_and_saveexec_b64 s[2:3], vcc
	s_cbranch_execz .LBB0_13
; %bb.12:
	global_load_dword v19, v32, s[6:7] offset:3432
	s_add_u32 s4, s6, 0xd68
	s_addc_u32 s5, s7, 0
	global_load_dword v43, v32, s[4:5] offset:264
	global_load_dword v68, v32, s[4:5] offset:528
	;; [unrolled: 1-line block ×10, first 2 shown]
	ds_read2_b32 v[56:57], v34 offset1:66
	ds_read2_b32 v[58:59], v34 offset0:132 offset1:198
	global_load_dword v77, v32, s[4:5] offset:2904
	v_add_u32_e32 v78, 0x400, v34
	v_add_u32_e32 v79, 0x800, v34
	ds_read2_b32 v[60:61], v78 offset0:8 offset1:74
	ds_read2_b32 v[62:63], v78 offset0:140 offset1:206
	;; [unrolled: 1-line block ×4, first 2 shown]
	global_load_dword v80, v32, s[4:5] offset:3168
	s_waitcnt lgkmcnt(5)
	v_lshrrev_b32_e32 v81, 16, v56
	v_lshrrev_b32_e32 v82, 16, v57
	s_waitcnt lgkmcnt(4)
	v_lshrrev_b32_e32 v83, 16, v58
	v_lshrrev_b32_e32 v84, 16, v59
	;; [unrolled: 3-line block ×5, first 2 shown]
	s_waitcnt vmcnt(9)
	v_mul_f16_sdwa v93, v84, v69 dst_sel:DWORD dst_unused:UNUSED_PAD src0_sel:DWORD src1_sel:WORD_1
	v_mul_f16_sdwa v94, v59, v69 dst_sel:DWORD dst_unused:UNUSED_PAD src0_sel:DWORD src1_sel:WORD_1
	s_waitcnt vmcnt(8)
	v_mul_f16_sdwa v95, v85, v70 dst_sel:DWORD dst_unused:UNUSED_PAD src0_sel:DWORD src1_sel:WORD_1
	v_mul_f16_sdwa v96, v60, v70 dst_sel:DWORD dst_unused:UNUSED_PAD src0_sel:DWORD src1_sel:WORD_1
	;; [unrolled: 1-line block ×4, first 2 shown]
	v_fma_f16 v56, v56, v19, -v91
	v_fma_f16 v19, v81, v19, v92
	v_pack_b32_f16 v19, v56, v19
	v_mul_f16_sdwa v56, v82, v43 dst_sel:DWORD dst_unused:UNUSED_PAD src0_sel:DWORD src1_sel:WORD_1
	v_mul_f16_sdwa v81, v57, v43 dst_sel:DWORD dst_unused:UNUSED_PAD src0_sel:DWORD src1_sel:WORD_1
	;; [unrolled: 1-line block ×4, first 2 shown]
	s_waitcnt vmcnt(7)
	v_mul_f16_sdwa v97, v86, v71 dst_sel:DWORD dst_unused:UNUSED_PAD src0_sel:DWORD src1_sel:WORD_1
	v_mul_f16_sdwa v98, v61, v71 dst_sel:DWORD dst_unused:UNUSED_PAD src0_sel:DWORD src1_sel:WORD_1
	s_waitcnt vmcnt(6)
	v_mul_f16_sdwa v99, v87, v72 dst_sel:DWORD dst_unused:UNUSED_PAD src0_sel:DWORD src1_sel:WORD_1
	v_mul_f16_sdwa v100, v62, v72 dst_sel:DWORD dst_unused:UNUSED_PAD src0_sel:DWORD src1_sel:WORD_1
	;; [unrolled: 3-line block ×5, first 2 shown]
	v_fma_f16 v56, v57, v43, -v56
	v_fma_f16 v43, v82, v43, v81
	v_fma_f16 v57, v58, v68, -v91
	v_fma_f16 v58, v83, v68, v92
	;; [unrolled: 2-line block ×9, first 2 shown]
	v_pack_b32_f16 v43, v56, v43
	v_pack_b32_f16 v56, v57, v58
	;; [unrolled: 1-line block ×8, first 2 shown]
	ds_write2_b32 v34, v19, v43 offset1:66
	ds_write2_b32 v34, v56, v57 offset0:132 offset1:198
	ds_write2_b32 v78, v58, v59 offset0:8 offset1:74
	;; [unrolled: 1-line block ×3, first 2 shown]
	v_pack_b32_f16 v19, v65, v74
	ds_write2_b32 v79, v62, v19 offset0:16 offset1:82
	s_waitcnt lgkmcnt(5)
	v_lshrrev_b32_e32 v19, 16, v66
	s_waitcnt vmcnt(2)
	v_mul_f16_sdwa v43, v19, v76 dst_sel:DWORD dst_unused:UNUSED_PAD src0_sel:DWORD src1_sel:WORD_1
	v_mul_f16_sdwa v56, v66, v76 dst_sel:DWORD dst_unused:UNUSED_PAD src0_sel:DWORD src1_sel:WORD_1
	v_fma_f16 v43, v66, v76, -v43
	v_fma_f16 v19, v19, v76, v56
	ds_read_b32 v57, v34 offset:3168
	v_pack_b32_f16 v19, v43, v19
	v_lshrrev_b32_e32 v43, 16, v67
	s_waitcnt vmcnt(1)
	v_mul_f16_sdwa v56, v43, v77 dst_sel:DWORD dst_unused:UNUSED_PAD src0_sel:DWORD src1_sel:WORD_1
	v_mul_f16_sdwa v58, v67, v77 dst_sel:DWORD dst_unused:UNUSED_PAD src0_sel:DWORD src1_sel:WORD_1
	v_fma_f16 v56, v67, v77, -v56
	v_fma_f16 v43, v43, v77, v58
	v_pack_b32_f16 v43, v56, v43
	ds_write2_b32 v79, v19, v43 offset0:148 offset1:214
	s_waitcnt lgkmcnt(1)
	v_lshrrev_b32_e32 v19, 16, v57
	s_waitcnt vmcnt(0)
	v_mul_f16_sdwa v43, v19, v80 dst_sel:DWORD dst_unused:UNUSED_PAD src0_sel:DWORD src1_sel:WORD_1
	v_mul_f16_sdwa v56, v57, v80 dst_sel:DWORD dst_unused:UNUSED_PAD src0_sel:DWORD src1_sel:WORD_1
	v_fma_f16 v43, v57, v80, -v43
	v_fma_f16 v19, v19, v80, v56
	v_pack_b32_f16 v19, v43, v19
	ds_write_b32 v34, v19 offset:3168
.LBB0_13:
	s_or_b64 exec, exec, s[2:3]
	s_waitcnt lgkmcnt(0)
	s_barrier
	s_and_saveexec_b64 s[2:3], vcc
	s_cbranch_execz .LBB0_15
; %bb.14:
	v_add_u32_e32 v19, 0x400, v34
	ds_read2_b32 v[20:21], v34 offset1:66
	ds_read2_b32 v[22:23], v34 offset0:132 offset1:198
	ds_read2_b32 v[24:25], v19 offset0:8 offset1:74
	;; [unrolled: 1-line block ×3, first 2 shown]
	v_add_u32_e32 v19, 0x800, v34
	ds_read2_b32 v[28:29], v19 offset0:16 offset1:82
	ds_read2_b32 v[30:31], v19 offset0:148 offset1:214
	ds_read_b32 v38, v34 offset:3168
	s_waitcnt lgkmcnt(6)
	v_lshrrev_b32_e32 v44, 16, v20
	v_lshrrev_b32_e32 v45, 16, v21
	s_waitcnt lgkmcnt(5)
	v_lshrrev_b32_e32 v46, 16, v22
	v_lshrrev_b32_e32 v47, 16, v23
	;; [unrolled: 3-line block ×6, first 2 shown]
	s_waitcnt lgkmcnt(0)
	v_lshrrev_b32_e32 v39, 16, v38
.LBB0_15:
	s_or_b64 exec, exec, s[2:3]
	v_sub_f16_e32 v68, v45, v39
	v_add_f16_e32 v56, v38, v21
	v_add_f16_e32 v70, v39, v45
	s_movk_i32 s4, 0x388b
	v_mul_f16_e32 v76, 0xba95, v68
	v_sub_f16_e32 v69, v46, v55
	v_sub_f16_e32 v58, v21, v38
	s_mov_b32 s14, 0xba95
	v_mul_f16_e32 v83, 0x388b, v70
	v_fma_f16 v19, v56, s4, -v76
	v_add_f16_e32 v57, v31, v22
	v_add_f16_e32 v72, v55, v46
	s_mov_b32 s5, 0xb5ac
	v_mul_f16_e32 v79, 0xbb7b, v69
	v_add_f16_e32 v19, v20, v19
	v_fma_f16 v43, v58, s14, v83
	v_sub_f16_e32 v60, v22, v31
	s_mov_b32 s16, 0xbb7b
	v_mul_f16_e32 v86, 0xb5ac, v72
	v_fma_f16 v59, v57, s5, -v79
	v_add_f16_e32 v43, v44, v43
	v_add_f16_e32 v19, v59, v19
	v_fma_f16 v59, v60, s16, v86
	v_sub_f16_e32 v71, v47, v54
	v_add_f16_e32 v43, v59, v43
	v_add_f16_e32 v59, v30, v23
	;; [unrolled: 1-line block ×3, first 2 shown]
	v_mul_f16_e32 v81, 0xb3a8, v71
	v_sub_f16_e32 v62, v23, v30
	s_mov_b32 s17, 0xb3a8
	v_mul_f16_e32 v87, 0xbbc4, v74
	v_fma_f16 v61, v59, s15, -v81
	v_add_f16_e32 v19, v61, v19
	v_fma_f16 v61, v62, s17, v87
	v_sub_f16_e32 v73, v48, v53
	v_add_f16_e32 v43, v61, v43
	v_add_f16_e32 v61, v29, v24
	;; [unrolled: 1-line block ×3, first 2 shown]
	s_mov_b32 s18, 0xb9fd
	v_mul_f16_e32 v84, 0x394e, v73
	v_sub_f16_e32 v64, v24, v29
	s_movk_i32 s22, 0x394e
	v_mul_f16_e32 v89, 0xb9fd, v77
	v_fma_f16 v63, v61, s18, -v84
	v_add_f16_e32 v19, v63, v19
	v_fma_f16 v63, v64, s22, v89
	v_sub_f16_e32 v75, v49, v52
	v_add_f16_e32 v43, v63, v43
	v_add_f16_e32 v63, v28, v25
	;; [unrolled: 1-line block ×3, first 2 shown]
	s_movk_i32 s19, 0x2fb7
	v_mul_f16_e32 v85, 0x3bf1, v75
	v_sub_f16_e32 v66, v25, v28
	s_movk_i32 s26, 0x3bf1
	v_mul_f16_e32 v90, 0x2fb7, v80
	v_fma_f16 v65, v63, s19, -v85
	v_add_f16_e32 v19, v65, v19
	v_fma_f16 v65, v66, s26, v90
	v_sub_f16_e32 v78, v50, v51
	v_add_f16_e32 v43, v65, v43
	v_add_f16_e32 v65, v27, v26
	;; [unrolled: 1-line block ×3, first 2 shown]
	s_movk_i32 s20, 0x3b15
	v_mul_f16_e32 v88, 0x3770, v78
	v_sub_f16_e32 v67, v26, v27
	s_movk_i32 s21, 0x3770
	v_mul_f16_e32 v91, 0x3b15, v82
	v_fma_f16 v92, v65, s20, -v88
	v_add_f16_e32 v19, v92, v19
	v_fma_f16 v92, v67, s21, v91
	v_add_f16_e32 v43, v92, v43
	s_barrier
	s_and_saveexec_b64 s[2:3], vcc
	s_cbranch_execz .LBB0_17
; %bb.16:
	v_mul_f16_e32 v92, 0xbbc4, v70
	s_movk_i32 s28, 0x33a8
	v_fma_f16 v93, v58, s28, v92
	v_mul_f16_e32 v94, 0x3b15, v72
	s_mov_b32 s23, 0xb770
	v_add_f16_e32 v93, v44, v93
	v_fma_f16 v95, v60, s23, v94
	v_add_f16_e32 v93, v95, v93
	v_mul_f16_e32 v95, 0xb9fd, v74
	v_fma_f16 v96, v62, s22, v95
	v_add_f16_e32 v93, v96, v93
	v_mul_f16_e32 v96, 0x388b, v77
	;; [unrolled: 3-line block ×3, first 2 shown]
	s_movk_i32 s27, 0x3b7b
	v_fma_f16 v98, v66, s27, v97
	v_add_f16_e32 v93, v98, v93
	v_mul_f16_e32 v98, 0x2fb7, v82
	s_mov_b32 s24, 0xbbf1
	v_fma_f16 v99, v67, s24, v98
	v_add_f16_e32 v93, v99, v93
	v_mul_f16_e32 v99, 0xb3a8, v68
	v_fma_f16 v100, v56, s15, v99
	v_mul_f16_e32 v101, 0x3770, v69
	v_add_f16_e32 v100, v20, v100
	v_fma_f16 v102, v57, s20, v101
	v_add_f16_e32 v100, v102, v100
	v_mul_f16_e32 v102, 0xb94e, v71
	v_fma_f16 v103, v59, s18, v102
	v_add_f16_e32 v100, v103, v100
	v_mul_f16_e32 v103, 0x3a95, v73
	v_fma_f16 v104, v61, s4, v103
	v_add_f16_e32 v100, v104, v100
	v_mul_f16_e32 v104, 0xbb7b, v75
	v_fma_f16 v105, v63, s5, v104
	v_add_f16_e32 v100, v105, v100
	v_mul_f16_e32 v105, 0x3bf1, v78
	v_fma_f16 v106, v65, s19, v105
	v_add_f16_e32 v100, v106, v100
	v_mul_f16_e32 v106, 0xb9fd, v70
	v_fma_f16 v107, v58, s22, v106
	v_mul_f16_e32 v108, 0x2fb7, v72
	v_add_f16_e32 v107, v44, v107
	v_fma_f16 v109, v60, s24, v108
	s_movk_i32 s29, 0x3a95
	v_add_f16_e32 v107, v109, v107
	v_mul_f16_e32 v109, 0x388b, v74
	v_fma_f16 v110, v62, s29, v109
	v_add_f16_e32 v107, v110, v107
	v_mul_f16_e32 v110, 0xbbc4, v77
	v_fma_f16 v111, v64, s17, v110
	;; [unrolled: 3-line block ×5, first 2 shown]
	v_mul_f16_e32 v115, 0x3bf1, v69
	v_add_f16_e32 v114, v20, v114
	v_fma_f16 v116, v57, s19, v115
	v_add_f16_e32 v114, v116, v114
	v_mul_f16_e32 v116, 0xba95, v71
	v_fma_f16 v117, v59, s4, v116
	v_add_f16_e32 v114, v117, v114
	v_mul_f16_e32 v117, 0x33a8, v73
	;; [unrolled: 3-line block ×5, first 2 shown]
	s_mov_b32 s25, 0xb94e
	v_fma_f16 v121, v58, s27, v120
	v_mul_f16_e32 v122, 0xb9fd, v72
	v_add_f16_e32 v121, v44, v121
	v_fma_f16 v123, v60, s25, v122
	v_add_f16_e32 v121, v123, v121
	v_mul_f16_e32 v123, 0x3b15, v74
	v_fma_f16 v124, v62, s23, v123
	v_add_f16_e32 v121, v124, v121
	v_mul_f16_e32 v124, 0x2fb7, v77
	;; [unrolled: 3-line block ×5, first 2 shown]
	v_fma_f16 v128, v56, s5, v127
	v_mul_f16_e32 v129, 0x394e, v69
	v_add_f16_e32 v128, v20, v128
	v_fma_f16 v130, v57, s18, v129
	v_add_f16_e32 v128, v130, v128
	v_mul_f16_e32 v130, 0x3770, v71
	v_fma_f16 v131, v59, s20, v130
	v_add_f16_e32 v128, v131, v128
	v_mul_f16_e32 v131, 0xbbf1, v73
	;; [unrolled: 3-line block ×4, first 2 shown]
	v_add_f16_e32 v21, v21, v20
	v_fma_f16 v134, v65, s4, v133
	v_add_f16_e32 v21, v22, v21
	v_add_f16_e32 v128, v134, v128
	v_mul_f16_e32 v134, 0x2fb7, v70
	v_add_f16_e32 v21, v23, v21
	v_fma_f16 v23, v58, s17, v92
	v_fma_f16 v135, v58, s26, v134
	v_mul_f16_e32 v136, 0xbbc4, v72
	v_add_f16_e32 v21, v24, v21
	v_add_f16_e32 v23, v44, v23
	v_fma_f16 v24, v60, s21, v94
	v_add_f16_e32 v135, v44, v135
	v_fma_f16 v137, v60, s28, v136
	;; [unrolled: 2-line block ×3, first 2 shown]
	v_add_f16_e32 v135, v137, v135
	v_mul_f16_e32 v137, 0xb5ac, v74
	v_add_f16_e32 v23, v24, v23
	v_fma_f16 v24, v64, s29, v96
	v_fma_f16 v138, v62, s16, v137
	v_add_f16_e32 v23, v24, v23
	v_fma_f16 v24, v66, s16, v97
	v_add_f16_e32 v135, v138, v135
	v_mul_f16_e32 v138, 0x3b15, v77
	v_add_f16_e32 v23, v24, v23
	v_fma_f16 v24, v67, s26, v98
	v_fma_f16 v139, v64, s23, v138
	v_add_f16_e32 v23, v24, v23
	v_fma_f16 v24, v56, s15, -v99
	v_add_f16_e32 v135, v139, v135
	v_mul_f16_e32 v139, 0x388b, v80
	v_add_f16_e32 v21, v25, v21
	v_add_f16_e32 v24, v20, v24
	v_fma_f16 v25, v57, s20, -v101
	v_fma_f16 v140, v66, s29, v139
	v_add_f16_e32 v24, v25, v24
	v_fma_f16 v25, v59, s18, -v102
	v_add_f16_e32 v135, v140, v135
	v_mul_f16_e32 v140, 0xb9fd, v82
	v_add_f16_e32 v24, v25, v24
	v_fma_f16 v25, v61, s4, -v103
	v_fma_f16 v141, v67, s22, v140
	v_add_f16_e32 v24, v25, v24
	v_fma_f16 v25, v63, s5, -v104
	v_add_f16_e32 v135, v141, v135
	v_mul_f16_e32 v141, 0xbbf1, v68
	v_add_f16_e32 v24, v25, v24
	v_fma_f16 v25, v65, s19, -v105
	v_fma_f16 v142, v56, s19, v141
	v_mul_f16_e32 v143, 0xb3a8, v69
	v_add_f16_e32 v24, v25, v24
	v_fma_f16 v25, v58, s25, v106
	v_add_f16_e32 v142, v20, v142
	v_fma_f16 v144, v57, s15, v143
	v_add_f16_e32 v21, v26, v21
	v_add_f16_e32 v25, v44, v25
	v_fma_f16 v26, v60, s26, v108
	v_add_f16_e32 v142, v144, v142
	v_mul_f16_e32 v144, 0x3b7b, v71
	v_add_f16_e32 v25, v26, v25
	v_fma_f16 v26, v62, s14, v109
	v_fma_f16 v145, v59, s5, v144
	v_add_f16_e32 v25, v26, v25
	v_fma_f16 v26, v64, s28, v110
	v_add_f16_e32 v142, v145, v142
	v_mul_f16_e32 v145, 0x3770, v73
	v_add_f16_e32 v25, v26, v25
	v_fma_f16 v26, v66, s21, v111
	v_fma_f16 v146, v61, s20, v145
	v_add_f16_e32 v25, v26, v25
	v_fma_f16 v26, v67, s16, v112
	v_add_f16_e32 v142, v146, v142
	v_mul_f16_e32 v146, 0xba95, v75
	v_add_f16_e32 v25, v26, v25
	v_fma_f16 v26, v56, s18, -v113
	v_fma_f16 v147, v63, s4, v146
	v_add_f16_e32 v21, v27, v21
	v_add_f16_e32 v26, v20, v26
	v_fma_f16 v27, v57, s19, -v115
	v_add_f16_e32 v142, v147, v142
	v_mul_f16_e32 v147, 0xb94e, v78
	v_add_f16_e32 v26, v27, v26
	v_fma_f16 v27, v59, s4, -v116
	v_fma_f16 v148, v65, s18, v147
	v_add_f16_e32 v26, v27, v26
	v_fma_f16 v27, v61, s15, -v117
	v_add_f16_e32 v142, v148, v142
	v_mul_f16_e32 v148, 0xba95, v58
	v_add_f16_e32 v26, v27, v26
	v_fma_f16 v27, v63, s20, -v118
	v_sub_f16_e32 v83, v83, v148
	v_mul_f16_e32 v148, 0xbb7b, v60
	v_add_f16_e32 v26, v27, v26
	v_fma_f16 v27, v65, s5, -v119
	v_sub_f16_e32 v86, v86, v148
	v_add_f16_e32 v83, v44, v83
	v_add_f16_e32 v26, v27, v26
	v_fma_f16 v27, v58, s16, v120
	v_add_f16_e32 v83, v86, v83
	v_mul_f16_e32 v86, 0xb3a8, v62
	v_add_f16_e32 v21, v28, v21
	v_add_f16_e32 v27, v44, v27
	v_fma_f16 v28, v60, s22, v122
	v_sub_f16_e32 v86, v87, v86
	v_add_f16_e32 v27, v28, v27
	v_fma_f16 v28, v62, s21, v123
	v_add_f16_e32 v83, v86, v83
	v_mul_f16_e32 v86, 0x394e, v64
	v_add_f16_e32 v27, v28, v27
	v_fma_f16 v28, v64, s24, v124
	v_sub_f16_e32 v86, v89, v86
	v_add_f16_e32 v27, v28, v27
	v_fma_f16 v28, v66, s28, v125
	v_add_f16_e32 v83, v86, v83
	v_mul_f16_e32 v86, 0x3bf1, v66
	v_add_f16_e32 v27, v28, v27
	v_fma_f16 v28, v67, s29, v126
	v_sub_f16_e32 v86, v90, v86
	v_add_f16_e32 v27, v28, v27
	v_fma_f16 v28, v56, s5, -v127
	v_add_f16_e32 v83, v86, v83
	v_mul_f16_e32 v86, 0x3770, v67
	v_add_f16_e32 v21, v29, v21
	v_add_f16_e32 v28, v20, v28
	v_fma_f16 v29, v57, s18, -v129
	v_sub_f16_e32 v86, v91, v86
	v_add_f16_e32 v28, v29, v28
	v_fma_f16 v29, v59, s20, -v130
	v_add_f16_e32 v83, v86, v83
	v_mul_f16_e32 v86, 0x388b, v56
	v_add_f16_e32 v28, v29, v28
	v_fma_f16 v29, v61, s19, -v131
	v_add_f16_e32 v76, v86, v76
	v_mul_f16_e32 v86, 0xb5ac, v57
	v_add_f16_e32 v28, v29, v28
	v_fma_f16 v29, v63, s15, -v132
	v_add_f16_e32 v79, v86, v79
	v_add_f16_e32 v76, v20, v76
	;; [unrolled: 1-line block ×3, first 2 shown]
	v_fma_f16 v29, v65, s4, -v133
	v_add_f16_e32 v76, v79, v76
	v_mul_f16_e32 v79, 0xbbc4, v59
	v_add_f16_e32 v28, v29, v28
	v_fma_f16 v29, v58, s24, v134
	v_add_f16_e32 v79, v79, v81
	v_add_f16_e32 v21, v30, v21
	;; [unrolled: 1-line block ×3, first 2 shown]
	v_fma_f16 v30, v60, s17, v136
	v_add_f16_e32 v76, v79, v76
	v_mul_f16_e32 v79, 0xb9fd, v61
	v_add_f16_e32 v29, v30, v29
	v_fma_f16 v30, v62, s27, v137
	v_add_f16_e32 v79, v79, v84
	v_mul_f16_e32 v81, 0x2fb7, v63
	v_add_f16_e32 v29, v30, v29
	;; [unrolled: 4-line block ×3, first 2 shown]
	v_add_f16_e32 v29, v30, v29
	v_fma_f16 v30, v66, s14, v139
	v_add_f16_e32 v76, v81, v76
	v_add_f16_e32 v79, v79, v88
	v_mul_f16_e32 v70, 0x3b15, v70
	v_add_f16_e32 v29, v30, v29
	v_fma_f16 v30, v67, s25, v140
	v_add_f16_e32 v76, v79, v76
	v_fma_f16 v79, v58, s21, v70
	v_mul_f16_e32 v72, 0x388b, v72
	v_add_f16_e32 v29, v30, v29
	v_fma_f16 v30, v56, s19, -v141
	v_add_f16_e32 v79, v44, v79
	v_fma_f16 v81, v60, s29, v72
	v_mul_f16_e32 v74, 0x2fb7, v74
	v_add_f16_e32 v21, v31, v21
	v_add_f16_e32 v30, v20, v30
	v_fma_f16 v31, v57, s15, -v143
	v_add_f16_e32 v79, v81, v79
	v_fma_f16 v81, v62, s26, v74
	v_mul_f16_e32 v77, 0xb5ac, v77
	v_add_f16_e32 v22, v45, v44
	;; [unrolled: 6-line block ×3, first 2 shown]
	v_add_f16_e32 v30, v31, v30
	v_fma_f16 v31, v61, s20, -v145
	v_add_f16_e32 v79, v81, v79
	v_fma_f16 v81, v66, s22, v80
	v_add_f16_e32 v22, v47, v22
	v_add_f16_e32 v30, v31, v30
	v_fma_f16 v31, v63, s4, -v146
	v_add_f16_e32 v79, v81, v79
	v_mul_f16_e32 v81, 0xbbc4, v82
	v_add_f16_e32 v22, v48, v22
	v_add_f16_e32 v30, v31, v30
	v_fma_f16 v31, v65, s18, -v147
	v_fma_f16 v82, v67, s28, v81
	v_mul_f16_e32 v68, 0xb770, v68
	v_add_f16_e32 v22, v49, v22
	v_add_f16_e32 v30, v31, v30
	v_fma_f16 v31, v58, s23, v70
	v_add_f16_e32 v79, v82, v79
	v_fma_f16 v82, v56, s20, v68
	v_mul_f16_e32 v69, 0xba95, v69
	v_add_f16_e32 v21, v38, v21
	v_add_f16_e32 v22, v50, v22
	;; [unrolled: 1-line block ×3, first 2 shown]
	v_fma_f16 v38, v60, s14, v72
	v_add_f16_e32 v82, v20, v82
	v_fma_f16 v84, v57, s4, v69
	v_mul_f16_e32 v71, 0xbbf1, v71
	v_add_f16_e32 v22, v51, v22
	v_add_f16_e32 v31, v38, v31
	v_fma_f16 v38, v62, s24, v74
	v_add_f16_e32 v82, v84, v82
	v_fma_f16 v84, v59, s19, v71
	v_mul_f16_e32 v73, 0xbb7b, v73
	v_add_f16_e32 v22, v52, v22
	v_add_f16_e32 v31, v38, v31
	;; [unrolled: 6-line block ×4, first 2 shown]
	v_fma_f16 v38, v67, s17, v81
	v_add_f16_e32 v82, v84, v82
	v_fma_f16 v84, v65, s15, v78
	v_add_f16_e32 v22, v55, v22
	v_add_f16_e32 v31, v38, v31
	v_fma_f16 v38, v56, s20, -v68
	v_add_f16_e32 v82, v84, v82
	v_add_f16_e32 v22, v39, v22
	;; [unrolled: 1-line block ×3, first 2 shown]
	v_fma_f16 v38, v57, s4, -v69
	v_add_f16_e32 v20, v38, v20
	v_fma_f16 v38, v59, s19, -v71
	v_lshl_add_u32 v35, v37, 2, v35
	v_pack_b32_f16 v37, v82, v79
	v_pack_b32_f16 v21, v21, v22
	v_add_f16_e32 v20, v38, v20
	v_fma_f16 v38, v61, s5, -v73
	ds_write2_b32 v35, v21, v37 offset1:1
	v_pack_b32_f16 v21, v76, v83
	v_pack_b32_f16 v22, v142, v135
	v_add_f16_e32 v20, v38, v20
	v_fma_f16 v38, v63, s18, -v75
	ds_write2_b32 v35, v21, v22 offset0:2 offset1:3
	v_pack_b32_f16 v21, v114, v107
	v_pack_b32_f16 v22, v128, v121
	v_add_f16_e32 v20, v38, v20
	v_fma_f16 v38, v65, s15, -v78
	ds_write2_b32 v35, v22, v21 offset0:4 offset1:5
	v_pack_b32_f16 v21, v24, v23
	v_pack_b32_f16 v22, v100, v93
	v_add_f16_e32 v20, v38, v20
	ds_write2_b32 v35, v22, v21 offset0:6 offset1:7
	v_pack_b32_f16 v21, v28, v27
	v_pack_b32_f16 v22, v26, v25
	s_mov_b32 s4, 0x5040100
	ds_write2_b32 v35, v22, v21 offset0:8 offset1:9
	v_pack_b32_f16 v21, v30, v29
	v_perm_b32 v22, v43, v19, s4
	v_pack_b32_f16 v20, v20, v31
	ds_write2_b32 v35, v21, v22 offset0:10 offset1:11
	ds_write_b32 v35, v20 offset:48
.LBB0_17:
	s_or_b64 exec, exec, s[2:3]
	s_waitcnt lgkmcnt(0)
	s_barrier
	ds_read2_b32 v[20:21], v36 offset1:78
	ds_read2_b32 v[23:24], v36 offset0:156 offset1:234
	v_add_u32_e32 v22, 0x400, v36
	ds_read2_b32 v[25:26], v22 offset0:56 offset1:134
	v_add_u32_e32 v27, 0x600, v36
	s_waitcnt lgkmcnt(2)
	v_lshrrev_b32_e32 v31, 16, v21
	v_mul_f16_sdwa v51, v0, v31 dst_sel:DWORD dst_unused:UNUSED_PAD src0_sel:WORD_1 src1_sel:DWORD
	s_waitcnt lgkmcnt(1)
	v_lshrrev_b32_e32 v35, 16, v23
	v_fma_f16 v51, v0, v21, v51
	v_mul_f16_sdwa v21, v0, v21 dst_sel:DWORD dst_unused:UNUSED_PAD src0_sel:WORD_1 src1_sel:DWORD
	v_fma_f16 v0, v0, v31, -v21
	v_mul_f16_sdwa v21, v1, v35 dst_sel:DWORD dst_unused:UNUSED_PAD src0_sel:WORD_1 src1_sel:DWORD
	v_lshrrev_b32_e32 v37, 16, v24
	v_fma_f16 v21, v1, v23, v21
	v_mul_f16_sdwa v23, v1, v23 dst_sel:DWORD dst_unused:UNUSED_PAD src0_sel:WORD_1 src1_sel:DWORD
	ds_read2_b32 v[27:28], v27 offset0:84 offset1:162
	v_fma_f16 v1, v1, v35, -v23
	v_mul_f16_sdwa v23, v2, v37 dst_sel:DWORD dst_unused:UNUSED_PAD src0_sel:WORD_1 src1_sel:DWORD
	s_waitcnt lgkmcnt(1)
	v_lshrrev_b32_e32 v38, 16, v25
	v_fma_f16 v23, v2, v24, v23
	v_mul_f16_sdwa v24, v2, v24 dst_sel:DWORD dst_unused:UNUSED_PAD src0_sel:WORD_1 src1_sel:DWORD
	v_fma_f16 v2, v2, v37, -v24
	v_mul_f16_sdwa v24, v3, v38 dst_sel:DWORD dst_unused:UNUSED_PAD src0_sel:WORD_1 src1_sel:DWORD
	v_add_u32_e32 v39, 0x800, v36
	v_lshrrev_b32_e32 v44, 16, v26
	v_fma_f16 v24, v3, v25, v24
	v_mul_f16_sdwa v25, v3, v25 dst_sel:DWORD dst_unused:UNUSED_PAD src0_sel:WORD_1 src1_sel:DWORD
	ds_read2_b32 v[29:30], v39 offset0:112 offset1:190
	v_fma_f16 v3, v3, v38, -v25
	v_mul_f16_sdwa v25, v4, v44 dst_sel:DWORD dst_unused:UNUSED_PAD src0_sel:WORD_1 src1_sel:DWORD
	s_waitcnt lgkmcnt(1)
	v_lshrrev_b32_e32 v46, 16, v27
	v_fma_f16 v25, v4, v26, v25
	v_mul_f16_sdwa v26, v4, v26 dst_sel:DWORD dst_unused:UNUSED_PAD src0_sel:WORD_1 src1_sel:DWORD
	v_fma_f16 v4, v4, v44, -v26
	v_mul_f16_sdwa v26, v5, v46 dst_sel:DWORD dst_unused:UNUSED_PAD src0_sel:WORD_1 src1_sel:DWORD
	v_lshrrev_b32_e32 v47, 16, v28
	v_fma_f16 v26, v5, v27, v26
	v_mul_f16_sdwa v27, v5, v27 dst_sel:DWORD dst_unused:UNUSED_PAD src0_sel:WORD_1 src1_sel:DWORD
	ds_read_b32 v45, v36 offset:3120
	v_fma_f16 v5, v5, v46, -v27
	v_mul_f16_sdwa v27, v6, v47 dst_sel:DWORD dst_unused:UNUSED_PAD src0_sel:WORD_1 src1_sel:DWORD
	s_waitcnt lgkmcnt(1)
	v_lshrrev_b32_e32 v48, 16, v29
	v_fma_f16 v27, v6, v28, v27
	v_mul_f16_sdwa v28, v6, v28 dst_sel:DWORD dst_unused:UNUSED_PAD src0_sel:WORD_1 src1_sel:DWORD
	v_fma_f16 v6, v6, v47, -v28
	v_mul_f16_sdwa v28, v7, v48 dst_sel:DWORD dst_unused:UNUSED_PAD src0_sel:WORD_1 src1_sel:DWORD
	v_lshrrev_b32_e32 v49, 16, v30
	v_fma_f16 v28, v7, v29, v28
	v_mul_f16_sdwa v29, v7, v29 dst_sel:DWORD dst_unused:UNUSED_PAD src0_sel:WORD_1 src1_sel:DWORD
	v_fma_f16 v7, v7, v48, -v29
	v_mul_f16_sdwa v29, v17, v49 dst_sel:DWORD dst_unused:UNUSED_PAD src0_sel:WORD_1 src1_sel:DWORD
	s_waitcnt lgkmcnt(0)
	v_lshrrev_b32_e32 v50, 16, v45
	v_fma_f16 v29, v17, v30, v29
	v_mul_f16_sdwa v30, v17, v30 dst_sel:DWORD dst_unused:UNUSED_PAD src0_sel:WORD_1 src1_sel:DWORD
	v_fma_f16 v17, v17, v49, -v30
	v_mul_f16_sdwa v30, v18, v50 dst_sel:DWORD dst_unused:UNUSED_PAD src0_sel:WORD_1 src1_sel:DWORD
	v_mul_f16_sdwa v31, v18, v45 dst_sel:DWORD dst_unused:UNUSED_PAD src0_sel:WORD_1 src1_sel:DWORD
	v_fma_f16 v30, v18, v45, v30
	v_fma_f16 v18, v18, v50, -v31
	v_add_f16_e32 v31, v20, v51
	v_add_f16_sdwa v35, v20, v0 dst_sel:DWORD dst_unused:UNUSED_PAD src0_sel:WORD_1 src1_sel:DWORD
	v_add_f16_e32 v31, v31, v21
	v_add_f16_e32 v35, v35, v1
	;; [unrolled: 1-line block ×17, first 2 shown]
	v_sub_f16_e32 v0, v0, v18
	v_add_f16_e32 v31, v31, v30
	v_add_f16_e32 v35, v35, v18
	;; [unrolled: 1-line block ×3, first 2 shown]
	v_sub_f16_e32 v30, v51, v30
	s_mov_b32 s15, 0xb853
	v_mul_f16_e32 v18, 0xb853, v0
	s_movk_i32 s16, 0x3abb
	v_mul_f16_e32 v45, 0x3abb, v38
	s_movk_i32 s17, 0x3853
	s_mov_b32 s3, 0xbb47
	v_mul_f16_e32 v47, 0xbb47, v0
	s_movk_i32 s4, 0x36a6
	v_mul_f16_e32 v49, 0x36a6, v38
	s_movk_i32 s5, 0x3b47
	s_mov_b32 s2, 0xbbeb
	v_mul_f16_e32 v51, 0xbbeb, v0
	s_mov_b32 s14, 0xb08e
	v_mul_f16_e32 v53, 0xb08e, v38
	s_movk_i32 s18, 0x3beb
	s_mov_b32 s19, 0xba0c
	v_mul_f16_e32 v55, 0xba0c, v0
	s_mov_b32 s20, 0xb93d
	;; [unrolled: 5-line block ×3, first 2 shown]
	v_mul_f16_e32 v38, 0xbbad, v38
	s_movk_i32 s24, 0x3482
	v_fma_f16 v44, v37, s16, v18
	v_fma_f16 v46, v30, s17, v45
	v_fma_f16 v18, v37, s16, -v18
	v_fma_f16 v45, v30, s15, v45
	v_fma_f16 v48, v37, s4, v47
	v_fma_f16 v50, v30, s5, v49
	v_fma_f16 v47, v37, s4, -v47
	v_fma_f16 v49, v30, s3, v49
	;; [unrolled: 4-line block ×5, first 2 shown]
	v_add_f16_e32 v37, v1, v17
	v_sub_f16_e32 v1, v1, v17
	v_add_f16_e32 v44, v20, v44
	v_add_f16_sdwa v46, v20, v46 dst_sel:DWORD dst_unused:UNUSED_PAD src0_sel:WORD_1 src1_sel:DWORD
	v_add_f16_e32 v18, v20, v18
	v_add_f16_sdwa v45, v20, v45 dst_sel:DWORD dst_unused:UNUSED_PAD src0_sel:WORD_1 src1_sel:DWORD
	;; [unrolled: 2-line block ×10, first 2 shown]
	v_add_f16_e32 v30, v21, v29
	v_mul_f16_e32 v17, 0xbb47, v1
	v_sub_f16_e32 v21, v21, v29
	v_fma_f16 v29, v30, s4, v17
	v_mul_f16_e32 v38, 0x36a6, v37
	v_fma_f16 v17, v30, s4, -v17
	v_add_f16_e32 v29, v29, v44
	v_fma_f16 v44, v21, s5, v38
	v_add_f16_e32 v17, v17, v18
	v_fma_f16 v18, v21, s3, v38
	v_mul_f16_e32 v38, 0xba0c, v1
	v_add_f16_e32 v44, v44, v46
	v_add_f16_e32 v18, v18, v45
	v_fma_f16 v45, v30, s20, v38
	v_mul_f16_e32 v46, 0xb93d, v37
	v_fma_f16 v38, v30, s20, -v38
	v_add_f16_e32 v45, v45, v48
	v_fma_f16 v48, v21, s21, v46
	v_add_f16_e32 v38, v38, v47
	v_fma_f16 v46, v21, s19, v46
	v_mul_f16_e32 v47, 0x3482, v1
	v_add_f16_e32 v48, v48, v50
	v_add_f16_e32 v46, v46, v49
	;; [unrolled: 10-line block ×3, first 2 shown]
	v_fma_f16 v53, v30, s14, v51
	v_mul_f16_e32 v54, 0xb08e, v37
	v_fma_f16 v51, v30, s14, -v51
	v_mul_f16_e32 v1, 0x3853, v1
	v_add_f16_e32 v53, v53, v56
	v_fma_f16 v56, v21, s2, v54
	v_add_f16_e32 v51, v51, v55
	v_fma_f16 v54, v21, s18, v54
	v_fma_f16 v55, v30, s16, v1
	v_mul_f16_e32 v37, 0x3abb, v37
	v_fma_f16 v1, v30, s16, -v1
	v_add_f16_e32 v54, v54, v57
	v_fma_f16 v57, v21, s15, v37
	v_add_f16_e32 v0, v1, v0
	v_fma_f16 v1, v21, s17, v37
	v_add_f16_e32 v21, v2, v7
	v_sub_f16_e32 v2, v2, v7
	v_add_f16_e32 v1, v1, v20
	v_add_f16_e32 v20, v23, v28
	v_mul_f16_e32 v7, 0xbbeb, v2
	v_sub_f16_e32 v23, v23, v28
	v_fma_f16 v28, v20, s14, v7
	v_add_f16_e32 v28, v28, v29
	v_mul_f16_e32 v29, 0xb08e, v21
	v_fma_f16 v7, v20, s14, -v7
	v_add_f16_e32 v7, v7, v17
	v_fma_f16 v17, v23, s2, v29
	v_add_f16_e32 v17, v17, v18
	v_mul_f16_e32 v18, 0x3482, v2
	v_fma_f16 v30, v23, s18, v29
	v_fma_f16 v29, v20, s23, v18
	v_fma_f16 v18, v20, s23, -v18
	v_mul_f16_e32 v37, 0xbbad, v21
	v_add_f16_e32 v18, v18, v38
	v_mul_f16_e32 v38, 0x3b47, v2
	v_add_f16_e32 v30, v30, v44
	v_add_f16_e32 v29, v29, v45
	v_fma_f16 v44, v23, s22, v37
	v_fma_f16 v37, v23, s24, v37
	;; [unrolled: 1-line block ×3, first 2 shown]
	v_fma_f16 v38, v20, s4, -v38
	v_add_f16_e32 v37, v37, v46
	v_mul_f16_e32 v46, 0x36a6, v21
	v_add_f16_e32 v38, v38, v47
	v_mul_f16_e32 v47, 0xb853, v2
	v_add_f16_e32 v44, v44, v48
	v_add_f16_e32 v45, v45, v49
	v_fma_f16 v48, v23, s3, v46
	v_fma_f16 v46, v23, s5, v46
	;; [unrolled: 1-line block ×3, first 2 shown]
	v_fma_f16 v47, v20, s16, -v47
	v_mul_f16_e32 v2, 0xba0c, v2
	v_add_f16_e32 v46, v46, v50
	v_mul_f16_e32 v50, 0x3abb, v21
	v_add_f16_e32 v47, v47, v51
	v_fma_f16 v51, v20, s20, v2
	v_mul_f16_e32 v21, 0xb93d, v21
	v_fma_f16 v2, v20, s20, -v2
	v_add_f16_e32 v0, v2, v0
	v_fma_f16 v2, v23, s19, v21
	v_add_f16_e32 v20, v3, v6
	v_sub_f16_e32 v3, v3, v6
	v_add_f16_e32 v1, v2, v1
	v_add_f16_e32 v2, v24, v27
	v_mul_f16_e32 v6, 0xba0c, v3
	v_add_f16_e32 v48, v48, v52
	v_add_f16_e32 v49, v49, v53
	v_fma_f16 v52, v23, s17, v50
	v_fma_f16 v50, v23, s15, v50
	;; [unrolled: 1-line block ×3, first 2 shown]
	v_sub_f16_e32 v21, v24, v27
	v_fma_f16 v23, v2, s20, v6
	v_mul_f16_e32 v24, 0xb93d, v20
	v_fma_f16 v6, v2, s20, -v6
	v_add_f16_e32 v6, v6, v7
	v_fma_f16 v7, v21, s19, v24
	v_add_f16_e32 v7, v7, v17
	v_mul_f16_e32 v17, 0x3beb, v3
	v_add_f16_e32 v23, v23, v28
	v_fma_f16 v27, v21, s21, v24
	v_fma_f16 v24, v2, s14, v17
	v_mul_f16_e32 v28, 0xb08e, v20
	v_fma_f16 v17, v2, s14, -v17
	v_add_f16_e32 v17, v17, v18
	v_fma_f16 v18, v21, s18, v28
	v_add_f16_e32 v24, v24, v29
	v_fma_f16 v29, v21, s2, v28
	v_add_f16_e32 v28, v18, v37
	v_mul_f16_e32 v18, 0xb853, v3
	v_add_f16_e32 v27, v27, v30
	v_fma_f16 v30, v2, s16, v18
	v_mul_f16_e32 v37, 0x3abb, v20
	v_fma_f16 v18, v2, s16, -v18
	v_add_f16_e32 v38, v18, v38
	v_fma_f16 v18, v21, s15, v37
	v_add_f16_e32 v29, v29, v44
	v_fma_f16 v44, v21, s17, v37
	v_add_f16_e32 v37, v18, v46
	v_mul_f16_e32 v18, 0xb482, v3
	v_add_f16_e32 v30, v30, v45
	v_fma_f16 v45, v2, s23, v18
	v_mul_f16_e32 v46, 0xbbad, v20
	v_fma_f16 v18, v2, s23, -v18
	v_add_f16_e32 v55, v55, v59
	v_add_f16_e32 v50, v50, v54
	;; [unrolled: 1-line block ×3, first 2 shown]
	v_fma_f16 v18, v21, s22, v46
	v_mul_f16_e32 v3, 0x3b47, v3
	v_add_f16_e32 v51, v51, v55
	v_add_f16_e32 v44, v44, v48
	v_fma_f16 v48, v21, s24, v46
	v_add_f16_e32 v46, v18, v50
	v_fma_f16 v18, v2, s4, v3
	v_add_f16_e32 v45, v45, v49
	v_add_f16_e32 v49, v18, v51
	v_mul_f16_e32 v18, 0x36a6, v20
	v_fma_f16 v2, v2, s4, -v3
	v_add_f16_e32 v0, v2, v0
	v_fma_f16 v2, v21, s5, v18
	v_add_f16_e32 v51, v4, v5
	v_sub_f16_e32 v4, v4, v5
	v_add_f16_e32 v56, v56, v58
	v_fma_f16 v20, v21, s3, v18
	v_add_f16_e32 v21, v2, v1
	v_add_f16_e32 v50, v25, v26
	v_mul_f16_e32 v1, 0xb482, v4
	v_add_f16_e32 v52, v52, v56
	v_fma_f16 v2, v50, s23, v1
	v_add_f16_e32 v48, v48, v52
	v_sub_f16_e32 v52, v25, v26
	v_add_f16_e32 v5, v2, v23
	v_mul_f16_e32 v2, 0xbbad, v51
	v_fma_f16 v1, v50, s23, -v1
	v_add_f16_e32 v18, v1, v6
	v_fma_f16 v1, v52, s22, v2
	v_add_f16_e32 v23, v1, v7
	v_mul_f16_e32 v1, 0x3853, v4
	v_fma_f16 v3, v52, s24, v2
	v_fma_f16 v2, v50, s16, v1
	v_add_f16_e32 v6, v2, v24
	v_mul_f16_e32 v2, 0x3abb, v51
	v_add_f16_e32 v27, v3, v27
	v_fma_f16 v3, v52, s15, v2
	v_fma_f16 v1, v50, s16, -v1
	v_add_f16_e32 v7, v3, v29
	v_add_f16_e32 v3, v1, v17
	v_fma_f16 v1, v52, s17, v2
	v_add_f16_e32 v17, v1, v28
	v_mul_f16_e32 v1, 0xba0c, v4
	v_fma_f16 v2, v50, s20, v1
	v_mul_f16_e32 v24, 0xb93d, v51
	v_add_f16_e32 v28, v2, v30
	v_fma_f16 v2, v52, s21, v24
	v_fma_f16 v1, v50, s20, -v1
	v_add_f16_e32 v29, v2, v44
	v_add_f16_e32 v2, v1, v38
	v_fma_f16 v1, v52, s19, v24
	v_add_f16_e32 v26, v1, v37
	v_mul_f16_e32 v1, 0x3b47, v4
	v_fma_f16 v24, v50, s4, v1
	v_add_f16_e32 v30, v24, v45
	v_mul_f16_e32 v24, 0x36a6, v51
	v_fma_f16 v25, v52, s3, v24
	v_fma_f16 v24, v52, s5, v24
	v_mul_f16_e32 v4, 0xbbeb, v4
	v_add_f16_e32 v37, v25, v48
	v_add_f16_e32 v25, v24, v46
	v_fma_f16 v24, v50, s14, v4
	v_add_f16_e32 v57, v57, v60
	v_add_f16_e32 v38, v24, v49
	v_mul_f16_e32 v24, 0xb08e, v51
	v_fma_f16 v4, v50, s14, -v4
	v_add_f16_e32 v53, v53, v57
	v_add_f16_e32 v0, v4, v0
	v_fma_f16 v4, v52, s2, v24
	v_add_f16_e32 v20, v20, v53
	v_fma_f16 v44, v52, s18, v24
	v_add_f16_e32 v24, v4, v21
	v_pack_b32_f16 v4, v31, v35
	v_pack_b32_f16 v5, v5, v27
	v_fma_f16 v1, v50, s4, -v1
	v_add_f16_e32 v20, v44, v20
	s_barrier
	ds_write2_b32 v41, v4, v5 offset1:13
	v_pack_b32_f16 v4, v6, v7
	v_pack_b32_f16 v5, v28, v29
	v_add_f16_e32 v1, v1, v47
	ds_write2_b32 v41, v4, v5 offset0:26 offset1:39
	v_pack_b32_f16 v4, v30, v37
	v_pack_b32_f16 v5, v38, v20
	ds_write2_b32 v41, v4, v5 offset0:52 offset1:65
	v_pack_b32_f16 v4, v0, v24
	v_pack_b32_f16 v5, v1, v25
	;; [unrolled: 3-line block ×3, first 2 shown]
	ds_write2_b32 v41, v4, v5 offset0:104 offset1:117
	v_pack_b32_f16 v4, v18, v23
	ds_write_b32 v41, v4 offset:520
	s_waitcnt lgkmcnt(0)
	s_barrier
	ds_read2_b32 v[4:5], v36 offset1:143
	ds_read2_b32 v[20:21], v22 offset0:30 offset1:173
	ds_read2_b32 v[6:7], v39 offset0:60 offset1:203
	s_and_saveexec_b64 s[2:3], s[0:1]
	s_cbranch_execz .LBB0_19
; %bb.18:
	v_add_u32_e32 v17, 0xa00, v36
	ds_read2_b32 v[0:1], v36 offset0:78 offset1:221
	ds_read2_b32 v[2:3], v22 offset0:108 offset1:251
	;; [unrolled: 1-line block ×3, first 2 shown]
	s_waitcnt lgkmcnt(2)
	v_lshrrev_b32_e32 v24, 16, v0
	v_lshrrev_b32_e32 v25, 16, v1
	s_waitcnt lgkmcnt(1)
	v_lshrrev_b32_e32 v26, 16, v2
	v_lshrrev_b32_e32 v17, 16, v3
	;; [unrolled: 3-line block ×3, first 2 shown]
.LBB0_19:
	s_or_b64 exec, exec, s[2:3]
	s_waitcnt lgkmcnt(2)
	v_lshrrev_b32_e32 v27, 16, v5
	v_mul_f16_sdwa v35, v12, v27 dst_sel:DWORD dst_unused:UNUSED_PAD src0_sel:WORD_1 src1_sel:DWORD
	s_waitcnt lgkmcnt(1)
	v_lshrrev_b32_e32 v28, 16, v20
	v_fma_f16 v35, v12, v5, v35
	v_mul_f16_sdwa v5, v12, v5 dst_sel:DWORD dst_unused:UNUSED_PAD src0_sel:WORD_1 src1_sel:DWORD
	v_fma_f16 v5, v12, v27, -v5
	v_mul_f16_sdwa v12, v13, v28 dst_sel:DWORD dst_unused:UNUSED_PAD src0_sel:WORD_1 src1_sel:DWORD
	v_lshrrev_b32_e32 v29, 16, v21
	v_fma_f16 v12, v13, v20, v12
	v_mul_f16_sdwa v20, v13, v20 dst_sel:DWORD dst_unused:UNUSED_PAD src0_sel:WORD_1 src1_sel:DWORD
	v_fma_f16 v13, v13, v28, -v20
	v_mul_f16_sdwa v20, v14, v29 dst_sel:DWORD dst_unused:UNUSED_PAD src0_sel:WORD_1 src1_sel:DWORD
	s_waitcnt lgkmcnt(0)
	v_lshrrev_b32_e32 v30, 16, v6
	v_fma_f16 v20, v14, v21, v20
	v_mul_f16_sdwa v21, v14, v21 dst_sel:DWORD dst_unused:UNUSED_PAD src0_sel:WORD_1 src1_sel:DWORD
	v_fma_f16 v14, v14, v29, -v21
	v_mul_f16_sdwa v21, v15, v30 dst_sel:DWORD dst_unused:UNUSED_PAD src0_sel:WORD_1 src1_sel:DWORD
	v_fma_f16 v21, v15, v6, v21
	v_mul_f16_sdwa v6, v15, v6 dst_sel:DWORD dst_unused:UNUSED_PAD src0_sel:WORD_1 src1_sel:DWORD
	v_lshrrev_b32_e32 v31, 16, v7
	v_fma_f16 v6, v15, v30, -v6
	v_add_f16_e32 v28, v12, v21
	v_lshrrev_b32_e32 v22, 16, v4
	v_mul_f16_sdwa v15, v42, v31 dst_sel:DWORD dst_unused:UNUSED_PAD src0_sel:WORD_1 src1_sel:DWORD
	v_add_f16_e32 v27, v4, v12
	v_fma_f16 v4, v28, -0.5, v4
	v_sub_f16_e32 v28, v13, v6
	s_mov_b32 s4, 0xbaee
	s_movk_i32 s5, 0x3aee
	v_fma_f16 v15, v42, v7, v15
	v_mul_f16_sdwa v7, v42, v7 dst_sel:DWORD dst_unused:UNUSED_PAD src0_sel:WORD_1 src1_sel:DWORD
	v_fma_f16 v29, v28, s4, v4
	v_fma_f16 v4, v28, s5, v4
	v_add_f16_e32 v28, v22, v13
	v_fma_f16 v7, v42, v31, -v7
	v_add_f16_e32 v27, v27, v21
	v_add_f16_e32 v28, v28, v6
	;; [unrolled: 1-line block ×3, first 2 shown]
	v_sub_f16_e32 v12, v12, v21
	v_add_f16_e32 v21, v20, v15
	v_fma_f16 v6, v6, -0.5, v22
	v_fma_f16 v21, v21, -0.5, v35
	v_sub_f16_e32 v22, v14, v7
	v_fma_f16 v30, v22, s4, v21
	v_fma_f16 v21, v22, s5, v21
	v_add_f16_e32 v22, v5, v14
	v_add_f16_e32 v22, v22, v7
	;; [unrolled: 1-line block ×3, first 2 shown]
	v_fma_f16 v5, v7, -0.5, v5
	v_sub_f16_e32 v7, v20, v15
	v_fma_f16 v13, v12, s5, v6
	v_fma_f16 v6, v12, s4, v6
	v_add_f16_e32 v12, v35, v20
	v_fma_f16 v14, v7, s5, v5
	v_add_f16_e32 v12, v12, v15
	v_fma_f16 v5, v7, s4, v5
	v_mul_f16_e32 v15, 0xbaee, v14
	v_mul_f16_e32 v14, 0.5, v14
	v_fma_f16 v15, v30, 0.5, v15
	v_mul_f16_e32 v31, 0xbaee, v5
	v_fma_f16 v14, v30, s5, v14
	v_mul_f16_e32 v5, -0.5, v5
	v_add_f16_e32 v7, v27, v12
	v_add_f16_e32 v20, v29, v15
	v_fma_f16 v31, v21, -0.5, v31
	v_add_f16_e32 v36, v28, v22
	v_add_f16_e32 v30, v13, v14
	v_fma_f16 v5, v21, s5, v5
	v_add_f16_e32 v35, v4, v31
	v_add_f16_e32 v21, v6, v5
	v_sub_f16_e32 v12, v27, v12
	v_sub_f16_e32 v22, v28, v22
	;; [unrolled: 1-line block ×3, first 2 shown]
	v_pack_b32_f16 v6, v7, v36
	v_pack_b32_f16 v7, v20, v30
	v_sub_f16_e32 v15, v29, v15
	v_sub_f16_e32 v4, v4, v31
	;; [unrolled: 1-line block ×3, first 2 shown]
	ds_write2_b32 v34, v6, v7 offset1:143
	v_pack_b32_f16 v6, v35, v21
	v_pack_b32_f16 v7, v12, v22
	v_add_u32_e32 v12, 0x400, v34
	ds_write2_b32 v12, v6, v7 offset0:30 offset1:173
	v_pack_b32_f16 v6, v15, v13
	v_pack_b32_f16 v4, v4, v5
	v_add_u32_e32 v5, 0x800, v34
	ds_write2_b32 v5, v6, v4 offset0:60 offset1:203
	s_and_saveexec_b64 s[2:3], s[0:1]
	s_cbranch_execz .LBB0_21
; %bb.20:
	v_mul_f16_sdwa v13, v10, v17 dst_sel:DWORD dst_unused:UNUSED_PAD src0_sel:WORD_1 src1_sel:DWORD
	v_fma_f16 v13, v10, v3, v13
	v_mul_f16_sdwa v3, v10, v3 dst_sel:DWORD dst_unused:UNUSED_PAD src0_sel:WORD_1 src1_sel:DWORD
	v_mul_f16_sdwa v12, v8, v25 dst_sel:DWORD dst_unused:UNUSED_PAD src0_sel:WORD_1 src1_sel:DWORD
	v_fma_f16 v3, v10, v17, -v3
	v_mul_f16_sdwa v10, v40, v19 dst_sel:DWORD dst_unused:UNUSED_PAD src0_sel:WORD_1 src1_sel:DWORD
	v_mul_f16_sdwa v4, v9, v2 dst_sel:DWORD dst_unused:UNUSED_PAD src0_sel:WORD_1 src1_sel:DWORD
	;; [unrolled: 1-line block ×4, first 2 shown]
	v_fma_f16 v12, v8, v1, v12
	v_mul_f16_sdwa v14, v40, v43 dst_sel:DWORD dst_unused:UNUSED_PAD src0_sel:WORD_1 src1_sel:DWORD
	v_fma_f16 v10, v40, v43, -v10
	v_mul_f16_sdwa v1, v8, v1 dst_sel:DWORD dst_unused:UNUSED_PAD src0_sel:WORD_1 src1_sel:DWORD
	v_fma_f16 v4, v9, v26, -v4
	v_fma_f16 v5, v11, v23, -v5
	v_fma_f16 v2, v9, v2, v7
	v_mul_f16_sdwa v7, v11, v23 dst_sel:DWORD dst_unused:UNUSED_PAD src0_sel:WORD_1 src1_sel:DWORD
	v_fma_f16 v14, v40, v19, v14
	v_fma_f16 v1, v8, v25, -v1
	v_add_f16_e32 v8, v3, v10
	v_add_f16_e32 v6, v4, v5
	v_fma_f16 v7, v11, v18, v7
	v_add_f16_e32 v15, v13, v14
	v_fma_f16 v8, v8, -0.5, v1
	v_sub_f16_e32 v19, v13, v14
	v_add_f16_e32 v1, v1, v3
	v_fma_f16 v6, v6, -0.5, v24
	v_sub_f16_e32 v9, v2, v7
	v_fma_f16 v15, v15, -0.5, v12
	v_sub_f16_e32 v17, v3, v10
	v_fma_f16 v20, v19, s4, v8
	v_fma_f16 v8, v19, s5, v8
	v_add_f16_e32 v1, v1, v10
	v_add_f16_e32 v10, v2, v7
	v_fma_f16 v11, v9, s4, v6
	v_fma_f16 v18, v17, s5, v15
	;; [unrolled: 1-line block ×4, first 2 shown]
	v_mul_f16_e32 v15, 0.5, v8
	v_add_f16_e32 v19, v4, v24
	v_fma_f16 v10, v10, -0.5, v0
	v_sub_f16_e32 v4, v4, v5
	v_mul_f16_e32 v8, 0xbaee, v8
	v_add_f16_e32 v0, v2, v0
	v_add_f16_e32 v2, v12, v13
	v_mul_f16_e32 v21, -0.5, v20
	v_fma_f16 v15, v9, s5, v15
	v_add_f16_e32 v19, v5, v19
	v_fma_f16 v5, v4, s5, v10
	v_mul_f16_e32 v20, 0xbaee, v20
	v_fma_f16 v4, v4, s4, v10
	v_fma_f16 v8, v9, 0.5, v8
	v_add_f16_e32 v0, v7, v0
	v_add_f16_e32 v2, v2, v14
	v_fma_f16 v21, v18, s5, v21
	v_sub_f16_e32 v17, v6, v15
	v_sub_f16_e32 v3, v19, v1
	v_fma_f16 v18, v18, -0.5, v20
	v_sub_f16_e32 v9, v4, v8
	v_sub_f16_e32 v7, v0, v2
	v_add_f16_e32 v6, v6, v15
	v_add_f16_e32 v1, v1, v19
	;; [unrolled: 1-line block ×4, first 2 shown]
	v_sub_f16_e32 v20, v5, v18
	v_add_f16_e32 v10, v11, v21
	v_add_f16_e32 v5, v5, v18
	v_pack_b32_f16 v0, v0, v1
	v_pack_b32_f16 v1, v4, v6
	v_sub_f16_e32 v22, v11, v21
	ds_write2_b32 v34, v0, v1 offset0:78 offset1:221
	v_pack_b32_f16 v0, v5, v10
	v_pack_b32_f16 v1, v7, v3
	v_add_u32_e32 v2, 0x400, v34
	ds_write2_b32 v2, v0, v1 offset0:108 offset1:251
	v_pack_b32_f16 v0, v9, v17
	v_pack_b32_f16 v1, v20, v22
	v_add_u32_e32 v2, 0xa00, v34
	ds_write2_b32 v2, v0, v1 offset0:10 offset1:153
.LBB0_21:
	s_or_b64 exec, exec, s[2:3]
	s_waitcnt lgkmcnt(0)
	s_barrier
	s_and_b64 exec, exec, vcc
	s_cbranch_execz .LBB0_23
; %bb.22:
	global_load_dword v9, v32, s[6:7]
	global_load_dword v8, v32, s[6:7] offset:264
	ds_read_b32 v15, v34
	v_mad_u64_u32 v[2:3], s[0:1], s10, v16, 0
	v_mad_u64_u32 v[4:5], s[0:1], s8, v33, 0
	v_mov_b32_e32 v6, 0x7c00
	s_mov_b32 s14, 0x58e9ebb6
	v_mad_u64_u32 v[16:17], s[0:1], s11, v16, v[3:4]
	s_waitcnt lgkmcnt(0)
	v_lshrrev_b32_e32 v3, 16, v15
	v_mad_u64_u32 v[19:20], s[0:1], s9, v33, v[5:6]
	s_mov_b32 s15, 0x3f531877
	ds_read2_b32 v[0:1], v34 offset0:66 offset1:132
	global_load_dword v10, v32, s[6:7] offset:528
	global_load_dword v11, v32, s[6:7] offset:792
	;; [unrolled: 1-line block ×6, first 2 shown]
	s_movk_i32 s18, 0x1ff
	s_movk_i32 s17, 0xffe
	v_mov_b32_e32 v5, v19
	s_movk_i32 s16, 0x40f
	s_mov_b32 s10, 0x8000
	s_waitcnt vmcnt(7)
	v_mul_f16_sdwa v17, v3, v9 dst_sel:DWORD dst_unused:UNUSED_PAD src0_sel:DWORD src1_sel:WORD_1
	v_fma_f16 v17, v15, v9, v17
	v_mul_f16_sdwa v15, v15, v9 dst_sel:DWORD dst_unused:UNUSED_PAD src0_sel:DWORD src1_sel:WORD_1
	v_cvt_f32_f16_e32 v17, v17
	v_fma_f16 v3, v9, v3, -v15
	v_cvt_f32_f16_e32 v3, v3
	s_waitcnt lgkmcnt(0)
	v_lshrrev_b32_e32 v9, 16, v0
	v_cvt_f64_f32_e32 v[17:18], v17
	v_cvt_f64_f32_e32 v[20:21], v3
	s_waitcnt vmcnt(6)
	v_mul_f16_sdwa v3, v9, v8 dst_sel:DWORD dst_unused:UNUSED_PAD src0_sel:DWORD src1_sel:WORD_1
	v_mul_f64 v[17:18], v[17:18], s[14:15]
	v_fma_f16 v3, v0, v8, v3
	v_mul_f64 v[20:21], v[20:21], s[14:15]
	v_cvt_f32_f16_e32 v15, v3
	v_mov_b32_e32 v3, v16
	v_lshlrev_b64 v[2:3], 2, v[2:3]
	v_mul_f16_sdwa v0, v0, v8 dst_sel:DWORD dst_unused:UNUSED_PAD src0_sel:DWORD src1_sel:WORD_1
	v_cvt_f64_f32_e32 v[15:16], v15
	v_and_or_b32 v17, v18, s18, v17
	v_cmp_ne_u32_e32 vcc, 0, v17
	v_and_or_b32 v20, v21, s18, v20
	v_lshrrev_b32_e32 v19, 8, v18
	v_bfe_u32 v22, v18, 20, 11
	v_cndmask_b32_e64 v17, 0, 1, vcc
	v_cmp_ne_u32_e32 vcc, 0, v20
	v_lshrrev_b32_e32 v23, 8, v21
	v_bfe_u32 v24, v21, 20, 11
	v_sub_u32_e32 v25, 0x3f1, v22
	v_cndmask_b32_e64 v20, 0, 1, vcc
	v_and_or_b32 v17, v19, s17, v17
	v_sub_u32_e32 v26, 0x3f1, v24
	v_med3_i32 v19, v25, 0, 13
	v_and_or_b32 v20, v23, s17, v20
	v_or_b32_e32 v25, 0x1000, v17
	v_add_u32_e32 v22, 0xfffffc10, v22
	v_med3_i32 v23, v26, 0, 13
	v_cmp_ne_u32_e32 vcc, 0, v17
	v_or_b32_e32 v27, 0x1000, v20
	v_lshrrev_b32_e32 v29, v19, v25
	v_add_u32_e32 v24, 0xfffffc10, v24
	v_lshl_or_b32 v26, v22, 12, v17
	v_cndmask_b32_e64 v17, 0, 1, vcc
	v_cmp_ne_u32_e32 vcc, 0, v20
	v_lshrrev_b32_e32 v30, v23, v27
	v_lshlrev_b32_e32 v19, v19, v29
	v_lshl_or_b32 v28, v24, 12, v20
	v_cndmask_b32_e64 v20, 0, 1, vcc
	v_lshlrev_b32_e32 v23, v23, v30
	v_cmp_ne_u32_e32 vcc, v19, v25
	v_cndmask_b32_e64 v19, 0, 1, vcc
	v_cmp_ne_u32_e32 vcc, v23, v27
	v_cndmask_b32_e64 v23, 0, 1, vcc
	v_or_b32_e32 v19, v29, v19
	v_cmp_gt_i32_e32 vcc, 1, v22
	v_cndmask_b32_e32 v19, v26, v19, vcc
	v_or_b32_e32 v23, v30, v23
	v_cmp_gt_i32_e32 vcc, 1, v24
	v_and_b32_e32 v25, 7, v19
	v_cndmask_b32_e32 v23, v28, v23, vcc
	v_cmp_lt_i32_e32 vcc, 5, v25
	v_cmp_eq_u32_e64 s[0:1], 3, v25
	v_lshrrev_b32_e32 v19, 2, v19
	v_and_b32_e32 v26, 7, v23
	s_or_b64 vcc, s[0:1], vcc
	v_cmp_lt_i32_e64 s[2:3], 5, v26
	v_cmp_eq_u32_e64 s[4:5], 3, v26
	v_addc_co_u32_e32 v19, vcc, 0, v19, vcc
	v_lshrrev_b32_e32 v23, 2, v23
	s_or_b64 vcc, s[4:5], s[2:3]
	v_addc_co_u32_e32 v23, vcc, 0, v23, vcc
	v_cmp_gt_i32_e32 vcc, 31, v22
	v_cndmask_b32_e32 v19, v6, v19, vcc
	v_cmp_gt_i32_e32 vcc, 31, v24
	v_lshl_or_b32 v17, v17, 9, v6
	v_cndmask_b32_e32 v23, v6, v23, vcc
	v_cmp_eq_u32_e32 vcc, s16, v22
	v_mul_f64 v[15:16], v[15:16], s[14:15]
	v_lshrrev_b32_e32 v18, 16, v18
	v_lshl_or_b32 v20, v20, 9, v6
	v_cndmask_b32_e32 v17, v19, v17, vcc
	v_cmp_eq_u32_e32 vcc, s16, v24
	v_lshrrev_b32_e32 v21, 16, v21
	v_cndmask_b32_e32 v19, v23, v20, vcc
	v_and_or_b32 v17, v18, s10, v17
	v_and_or_b32 v18, v21, s10, v19
	v_and_b32_e32 v17, 0xffff, v17
	v_lshl_or_b32 v17, v18, 16, v17
	v_mov_b32_e32 v18, s13
	v_add_co_u32_e32 v19, vcc, s12, v2
	v_addc_co_u32_e32 v18, vcc, v18, v3, vcc
	v_lshlrev_b64 v[2:3], 2, v[4:5]
	v_and_or_b32 v4, v16, s18, v15
	v_add_co_u32_e32 v2, vcc, v19, v2
	v_addc_co_u32_e32 v3, vcc, v18, v3, vcc
	v_cmp_ne_u32_e32 vcc, 0, v4
	v_cndmask_b32_e64 v4, 0, 1, vcc
	v_lshrrev_b32_e32 v5, 8, v16
	v_and_or_b32 v15, v5, s17, v4
	v_bfe_u32 v5, v16, 20, 11
	global_store_dword v[2:3], v17, off
	v_sub_u32_e32 v17, 0x3f1, v5
	v_or_b32_e32 v4, 0x1000, v15
	v_med3_i32 v17, v17, 0, 13
	v_lshrrev_b32_e32 v18, v17, v4
	v_lshlrev_b32_e32 v17, v17, v18
	v_cmp_ne_u32_e32 vcc, v17, v4
	v_fma_f16 v0, v8, v9, -v0
	v_cndmask_b32_e64 v4, 0, 1, vcc
	v_add_u32_e32 v17, 0xfffffc10, v5
	v_cvt_f32_f16_e32 v0, v0
	v_or_b32_e32 v4, v18, v4
	v_lshl_or_b32 v5, v17, 12, v15
	v_cmp_gt_i32_e32 vcc, 1, v17
	v_cndmask_b32_e32 v4, v5, v4, vcc
	v_and_b32_e32 v5, 7, v4
	v_cmp_lt_i32_e32 vcc, 5, v5
	v_cmp_eq_u32_e64 s[0:1], 3, v5
	v_lshrrev_b32_e32 v8, 2, v4
	v_cvt_f64_f32_e32 v[4:5], v0
	s_or_b64 vcc, s[0:1], vcc
	v_addc_co_u32_e32 v0, vcc, 0, v8, vcc
	v_mul_f64 v[4:5], v[4:5], s[14:15]
	v_cmp_gt_i32_e32 vcc, 31, v17
	v_cndmask_b32_e32 v0, v6, v0, vcc
	v_cmp_ne_u32_e32 vcc, 0, v15
	v_cndmask_b32_e64 v8, 0, 1, vcc
	v_lshl_or_b32 v8, v8, 9, v6
	v_cmp_eq_u32_e32 vcc, s16, v17
	v_cndmask_b32_e32 v0, v0, v8, vcc
	v_and_or_b32 v4, v5, s18, v4
	v_lshrrev_b32_e32 v8, 16, v16
	v_cmp_ne_u32_e32 vcc, 0, v4
	v_and_or_b32 v0, v8, s10, v0
	v_cndmask_b32_e64 v4, 0, 1, vcc
	v_lshrrev_b32_e32 v8, 8, v5
	v_bfe_u32 v9, v5, 20, 11
	v_and_or_b32 v4, v8, s17, v4
	v_sub_u32_e32 v15, 0x3f1, v9
	v_or_b32_e32 v8, 0x1000, v4
	v_med3_i32 v15, v15, 0, 13
	v_lshrrev_b32_e32 v16, v15, v8
	v_lshlrev_b32_e32 v15, v15, v16
	v_cmp_ne_u32_e32 vcc, v15, v8
	v_cndmask_b32_e64 v8, 0, 1, vcc
	v_add_u32_e32 v9, 0xfffffc10, v9
	v_or_b32_e32 v8, v16, v8
	v_lshl_or_b32 v15, v9, 12, v4
	v_cmp_gt_i32_e32 vcc, 1, v9
	v_cndmask_b32_e32 v8, v15, v8, vcc
	v_and_b32_e32 v15, 7, v8
	v_cmp_lt_i32_e32 vcc, 5, v15
	v_cmp_eq_u32_e64 s[0:1], 3, v15
	v_lshrrev_b32_e32 v8, 2, v8
	s_or_b64 vcc, s[0:1], vcc
	v_addc_co_u32_e32 v8, vcc, 0, v8, vcc
	v_cmp_gt_i32_e32 vcc, 31, v9
	v_cndmask_b32_e32 v8, v6, v8, vcc
	v_cmp_ne_u32_e32 vcc, 0, v4
	v_cndmask_b32_e64 v4, 0, 1, vcc
	v_lshl_or_b32 v4, v4, 9, v6
	v_cmp_eq_u32_e32 vcc, s16, v9
	v_cndmask_b32_e32 v4, v8, v4, vcc
	v_lshrrev_b32_e32 v8, 16, v1
	s_waitcnt vmcnt(6)
	v_mul_f16_sdwa v9, v8, v10 dst_sel:DWORD dst_unused:UNUSED_PAD src0_sel:DWORD src1_sel:WORD_1
	v_fma_f16 v9, v1, v10, v9
	v_cvt_f32_f16_e32 v9, v9
	v_lshrrev_b32_e32 v5, 16, v5
	v_and_or_b32 v4, v5, s10, v4
	v_and_b32_e32 v0, 0xffff, v0
	v_lshl_or_b32 v0, v4, 16, v0
	v_cvt_f64_f32_e32 v[4:5], v9
	s_mul_i32 s0, s9, 0x108
	s_mul_hi_u32 s2, s8, 0x108
	s_add_i32 s2, s2, s0
	v_mul_f64 v[4:5], v[4:5], s[14:15]
	s_mul_i32 s3, s8, 0x108
	v_mov_b32_e32 v9, s2
	v_add_co_u32_e32 v2, vcc, s3, v2
	v_addc_co_u32_e32 v3, vcc, v3, v9, vcc
	global_store_dword v[2:3], v0, off
	v_and_or_b32 v0, v5, s18, v4
	v_cmp_ne_u32_e32 vcc, 0, v0
	v_cndmask_b32_e64 v0, 0, 1, vcc
	v_lshrrev_b32_e32 v4, 8, v5
	v_bfe_u32 v9, v5, 20, 11
	v_and_or_b32 v4, v4, s17, v0
	v_sub_u32_e32 v15, 0x3f1, v9
	v_or_b32_e32 v0, 0x1000, v4
	v_med3_i32 v15, v15, 0, 13
	v_lshrrev_b32_e32 v16, v15, v0
	v_mul_f16_sdwa v1, v1, v10 dst_sel:DWORD dst_unused:UNUSED_PAD src0_sel:DWORD src1_sel:WORD_1
	v_lshlrev_b32_e32 v15, v15, v16
	v_fma_f16 v1, v10, v8, -v1
	v_cmp_ne_u32_e32 vcc, v15, v0
	v_cvt_f32_f16_e32 v1, v1
	v_cndmask_b32_e64 v0, 0, 1, vcc
	v_add_u32_e32 v9, 0xfffffc10, v9
	v_or_b32_e32 v0, v16, v0
	v_lshl_or_b32 v15, v9, 12, v4
	v_cmp_gt_i32_e32 vcc, 1, v9
	v_cndmask_b32_e32 v0, v15, v0, vcc
	v_and_b32_e32 v15, 7, v0
	v_lshrrev_b32_e32 v8, 2, v0
	v_cvt_f64_f32_e32 v[0:1], v1
	v_cmp_lt_i32_e32 vcc, 5, v15
	v_cmp_eq_u32_e64 s[0:1], 3, v15
	s_or_b64 vcc, s[0:1], vcc
	v_mul_f64 v[0:1], v[0:1], s[14:15]
	v_addc_co_u32_e32 v8, vcc, 0, v8, vcc
	v_cmp_gt_i32_e32 vcc, 31, v9
	v_cndmask_b32_e32 v8, v6, v8, vcc
	v_cmp_ne_u32_e32 vcc, 0, v4
	v_cndmask_b32_e64 v4, 0, 1, vcc
	v_lshl_or_b32 v4, v4, 9, v6
	v_cmp_eq_u32_e32 vcc, s16, v9
	v_and_or_b32 v0, v1, s18, v0
	v_cndmask_b32_e32 v4, v8, v4, vcc
	v_lshrrev_b32_e32 v5, 16, v5
	v_cmp_ne_u32_e32 vcc, 0, v0
	v_and_or_b32 v10, v5, s10, v4
	v_cndmask_b32_e64 v0, 0, 1, vcc
	v_lshrrev_b32_e32 v4, 8, v1
	v_bfe_u32 v5, v1, 20, 11
	v_and_or_b32 v0, v4, s17, v0
	v_sub_u32_e32 v8, 0x3f1, v5
	v_or_b32_e32 v4, 0x1000, v0
	v_med3_i32 v8, v8, 0, 13
	v_lshrrev_b32_e32 v9, v8, v4
	v_lshlrev_b32_e32 v8, v8, v9
	v_cmp_ne_u32_e32 vcc, v8, v4
	v_cndmask_b32_e64 v4, 0, 1, vcc
	v_add_u32_e32 v8, 0xfffffc10, v5
	v_or_b32_e32 v4, v9, v4
	v_lshl_or_b32 v5, v8, 12, v0
	v_cmp_gt_i32_e32 vcc, 1, v8
	v_cndmask_b32_e32 v4, v5, v4, vcc
	v_and_b32_e32 v5, 7, v4
	v_cmp_lt_i32_e32 vcc, 5, v5
	v_cmp_eq_u32_e64 s[0:1], 3, v5
	v_lshrrev_b32_e32 v4, 2, v4
	s_or_b64 vcc, s[0:1], vcc
	v_addc_co_u32_e32 v9, vcc, 0, v4, vcc
	v_add_u32_e32 v4, 0x200, v34
	ds_read2_b32 v[4:5], v4 offset0:70 offset1:136
	v_cmp_gt_i32_e32 vcc, 31, v8
	v_cndmask_b32_e32 v9, v6, v9, vcc
	v_cmp_ne_u32_e32 vcc, 0, v0
	v_cndmask_b32_e64 v0, 0, 1, vcc
	s_waitcnt lgkmcnt(0)
	v_lshrrev_b32_e32 v15, 16, v4
	s_waitcnt vmcnt(6)
	v_mul_f16_sdwa v16, v15, v11 dst_sel:DWORD dst_unused:UNUSED_PAD src0_sel:DWORD src1_sel:WORD_1
	v_fma_f16 v16, v4, v11, v16
	v_cvt_f32_f16_e32 v16, v16
	v_lshl_or_b32 v0, v0, 9, v6
	v_cmp_eq_u32_e32 vcc, s16, v8
	v_cndmask_b32_e32 v0, v9, v0, vcc
	v_cvt_f64_f32_e32 v[8:9], v16
	v_lshrrev_b32_e32 v1, 16, v1
	v_and_or_b32 v16, v1, s10, v0
	v_add_co_u32_e32 v2, vcc, s3, v2
	v_mul_f64 v[0:1], v[8:9], s[14:15]
	v_mov_b32_e32 v9, s2
	v_and_b32_e32 v10, 0xffff, v10
	v_addc_co_u32_e32 v3, vcc, v3, v9, vcc
	v_lshl_or_b32 v8, v16, 16, v10
	global_store_dword v[2:3], v8, off
	v_mul_f16_sdwa v4, v4, v11 dst_sel:DWORD dst_unused:UNUSED_PAD src0_sel:DWORD src1_sel:WORD_1
	v_and_or_b32 v0, v1, s18, v0
	v_cmp_ne_u32_e32 vcc, 0, v0
	v_cndmask_b32_e64 v0, 0, 1, vcc
	v_lshrrev_b32_e32 v8, 8, v1
	v_bfe_u32 v9, v1, 20, 11
	v_and_or_b32 v0, v8, s17, v0
	v_sub_u32_e32 v10, 0x3f1, v9
	v_or_b32_e32 v8, 0x1000, v0
	v_med3_i32 v10, v10, 0, 13
	v_lshrrev_b32_e32 v16, v10, v8
	v_lshlrev_b32_e32 v10, v10, v16
	v_cmp_ne_u32_e32 vcc, v10, v8
	v_fma_f16 v4, v11, v15, -v4
	v_cndmask_b32_e64 v8, 0, 1, vcc
	v_add_u32_e32 v10, 0xfffffc10, v9
	v_cvt_f32_f16_e32 v4, v4
	v_or_b32_e32 v8, v16, v8
	v_lshl_or_b32 v9, v10, 12, v0
	v_cmp_gt_i32_e32 vcc, 1, v10
	v_cndmask_b32_e32 v8, v9, v8, vcc
	v_and_b32_e32 v9, 7, v8
	v_cmp_lt_i32_e32 vcc, 5, v9
	v_cmp_eq_u32_e64 s[0:1], 3, v9
	v_lshrrev_b32_e32 v11, 2, v8
	v_cvt_f64_f32_e32 v[8:9], v4
	s_or_b64 vcc, s[0:1], vcc
	v_addc_co_u32_e32 v4, vcc, 0, v11, vcc
	v_mul_f64 v[8:9], v[8:9], s[14:15]
	v_cmp_gt_i32_e32 vcc, 31, v10
	v_cndmask_b32_e32 v4, v6, v4, vcc
	v_cmp_ne_u32_e32 vcc, 0, v0
	v_cndmask_b32_e64 v0, 0, 1, vcc
	v_lshl_or_b32 v0, v0, 9, v6
	v_cmp_eq_u32_e32 vcc, s16, v10
	v_cndmask_b32_e32 v0, v4, v0, vcc
	v_lshrrev_b32_e32 v1, 16, v1
	v_and_or_b32 v4, v1, s10, v0
	v_and_or_b32 v0, v9, s18, v8
	v_cmp_ne_u32_e32 vcc, 0, v0
	v_cndmask_b32_e64 v0, 0, 1, vcc
	v_lshrrev_b32_e32 v1, 8, v9
	v_bfe_u32 v8, v9, 20, 11
	v_and_or_b32 v0, v1, s17, v0
	v_sub_u32_e32 v10, 0x3f1, v8
	v_or_b32_e32 v1, 0x1000, v0
	v_med3_i32 v10, v10, 0, 13
	v_lshrrev_b32_e32 v11, v10, v1
	v_lshlrev_b32_e32 v10, v10, v11
	v_cmp_ne_u32_e32 vcc, v10, v1
	v_cndmask_b32_e64 v1, 0, 1, vcc
	v_add_u32_e32 v8, 0xfffffc10, v8
	v_or_b32_e32 v1, v11, v1
	v_lshl_or_b32 v10, v8, 12, v0
	v_cmp_gt_i32_e32 vcc, 1, v8
	v_cndmask_b32_e32 v1, v10, v1, vcc
	v_and_b32_e32 v10, 7, v1
	v_cmp_lt_i32_e32 vcc, 5, v10
	v_cmp_eq_u32_e64 s[0:1], 3, v10
	v_lshrrev_b32_e32 v10, 16, v5
	v_lshrrev_b32_e32 v1, 2, v1
	s_or_b64 vcc, s[0:1], vcc
	s_waitcnt vmcnt(6)
	v_mul_f16_sdwa v11, v10, v12 dst_sel:DWORD dst_unused:UNUSED_PAD src0_sel:DWORD src1_sel:WORD_1
	v_addc_co_u32_e32 v1, vcc, 0, v1, vcc
	v_fma_f16 v11, v5, v12, v11
	v_cmp_gt_i32_e32 vcc, 31, v8
	v_cvt_f32_f16_e32 v11, v11
	v_cndmask_b32_e32 v1, v6, v1, vcc
	v_cmp_ne_u32_e32 vcc, 0, v0
	v_cndmask_b32_e64 v0, 0, 1, vcc
	v_lshl_or_b32 v0, v0, 9, v6
	v_cmp_eq_u32_e32 vcc, s16, v8
	v_cndmask_b32_e32 v8, v1, v0, vcc
	v_cvt_f64_f32_e32 v[0:1], v11
	v_lshrrev_b32_e32 v9, 16, v9
	v_and_or_b32 v8, v9, s10, v8
	v_and_b32_e32 v4, 0xffff, v4
	v_mul_f64 v[0:1], v[0:1], s[14:15]
	v_lshl_or_b32 v4, v8, 16, v4
	v_mov_b32_e32 v8, s2
	v_add_co_u32_e32 v2, vcc, s3, v2
	v_addc_co_u32_e32 v3, vcc, v3, v8, vcc
	global_store_dword v[2:3], v4, off
	v_and_or_b32 v0, v1, s18, v0
	v_cmp_ne_u32_e32 vcc, 0, v0
	v_cndmask_b32_e64 v0, 0, 1, vcc
	v_lshrrev_b32_e32 v4, 8, v1
	v_bfe_u32 v8, v1, 20, 11
	v_and_or_b32 v0, v4, s17, v0
	v_sub_u32_e32 v9, 0x3f1, v8
	v_or_b32_e32 v4, 0x1000, v0
	v_med3_i32 v9, v9, 0, 13
	v_lshrrev_b32_e32 v11, v9, v4
	v_lshlrev_b32_e32 v9, v9, v11
	v_mul_f16_sdwa v5, v5, v12 dst_sel:DWORD dst_unused:UNUSED_PAD src0_sel:DWORD src1_sel:WORD_1
	v_cmp_ne_u32_e32 vcc, v9, v4
	v_fma_f16 v5, v12, v10, -v5
	v_cndmask_b32_e64 v4, 0, 1, vcc
	v_add_u32_e32 v8, 0xfffffc10, v8
	v_cvt_f32_f16_e32 v5, v5
	v_or_b32_e32 v4, v11, v4
	v_lshl_or_b32 v9, v8, 12, v0
	v_cmp_gt_i32_e32 vcc, 1, v8
	v_cndmask_b32_e32 v4, v9, v4, vcc
	v_and_b32_e32 v9, 7, v4
	v_cmp_lt_i32_e32 vcc, 5, v9
	v_cmp_eq_u32_e64 s[0:1], 3, v9
	v_lshrrev_b32_e32 v9, 2, v4
	v_cvt_f64_f32_e32 v[4:5], v5
	s_or_b64 vcc, s[0:1], vcc
	v_addc_co_u32_e32 v9, vcc, 0, v9, vcc
	v_mul_f64 v[4:5], v[4:5], s[14:15]
	v_cmp_gt_i32_e32 vcc, 31, v8
	v_cndmask_b32_e32 v9, v6, v9, vcc
	v_cmp_ne_u32_e32 vcc, 0, v0
	v_cndmask_b32_e64 v0, 0, 1, vcc
	v_lshl_or_b32 v0, v0, 9, v6
	v_cmp_eq_u32_e32 vcc, s16, v8
	v_cndmask_b32_e32 v0, v9, v0, vcc
	v_lshrrev_b32_e32 v1, 16, v1
	v_and_or_b32 v10, v1, s10, v0
	v_and_or_b32 v0, v5, s18, v4
	v_cmp_ne_u32_e32 vcc, 0, v0
	v_cndmask_b32_e64 v0, 0, 1, vcc
	v_lshrrev_b32_e32 v1, 8, v5
	v_and_or_b32 v4, v1, s17, v0
	v_bfe_u32 v1, v5, 20, 11
	v_sub_u32_e32 v8, 0x3f1, v1
	v_or_b32_e32 v0, 0x1000, v4
	v_med3_i32 v8, v8, 0, 13
	v_lshrrev_b32_e32 v9, v8, v0
	v_lshlrev_b32_e32 v8, v8, v9
	v_cmp_ne_u32_e32 vcc, v8, v0
	v_cndmask_b32_e64 v0, 0, 1, vcc
	v_add_u32_e32 v8, 0xfffffc10, v1
	v_or_b32_e32 v0, v9, v0
	v_lshl_or_b32 v1, v8, 12, v4
	v_cmp_gt_i32_e32 vcc, 1, v8
	v_cndmask_b32_e32 v0, v1, v0, vcc
	v_and_b32_e32 v1, 7, v0
	v_cmp_lt_i32_e32 vcc, 5, v1
	v_cmp_eq_u32_e64 s[0:1], 3, v1
	v_lshrrev_b32_e32 v0, 2, v0
	s_or_b64 vcc, s[0:1], vcc
	v_addc_co_u32_e32 v9, vcc, 0, v0, vcc
	v_add_u32_e32 v0, 0x400, v34
	ds_read2_b32 v[0:1], v0 offset0:74 offset1:140
	v_cmp_gt_i32_e32 vcc, 31, v8
	v_cndmask_b32_e32 v9, v6, v9, vcc
	v_cmp_ne_u32_e32 vcc, 0, v4
	v_cndmask_b32_e64 v4, 0, 1, vcc
	s_waitcnt lgkmcnt(0)
	v_lshrrev_b32_e32 v11, 16, v0
	s_waitcnt vmcnt(6)
	v_mul_f16_sdwa v12, v11, v13 dst_sel:DWORD dst_unused:UNUSED_PAD src0_sel:DWORD src1_sel:WORD_1
	v_fma_f16 v12, v0, v13, v12
	v_cvt_f32_f16_e32 v12, v12
	v_lshl_or_b32 v4, v4, 9, v6
	v_cmp_eq_u32_e32 vcc, s16, v8
	v_cndmask_b32_e32 v4, v9, v4, vcc
	v_cvt_f64_f32_e32 v[8:9], v12
	v_lshrrev_b32_e32 v5, 16, v5
	v_and_or_b32 v12, v5, s10, v4
	v_add_co_u32_e32 v2, vcc, s3, v2
	v_mul_f64 v[4:5], v[8:9], s[14:15]
	v_mov_b32_e32 v9, s2
	v_and_b32_e32 v10, 0xffff, v10
	v_addc_co_u32_e32 v3, vcc, v3, v9, vcc
	v_lshl_or_b32 v8, v12, 16, v10
	global_store_dword v[2:3], v8, off
	v_mul_f16_sdwa v0, v0, v13 dst_sel:DWORD dst_unused:UNUSED_PAD src0_sel:DWORD src1_sel:WORD_1
	v_and_or_b32 v4, v5, s18, v4
	v_cmp_ne_u32_e32 vcc, 0, v4
	v_cndmask_b32_e64 v4, 0, 1, vcc
	v_lshrrev_b32_e32 v8, 8, v5
	v_bfe_u32 v9, v5, 20, 11
	v_and_or_b32 v4, v8, s17, v4
	v_sub_u32_e32 v10, 0x3f1, v9
	v_or_b32_e32 v8, 0x1000, v4
	v_med3_i32 v10, v10, 0, 13
	v_lshrrev_b32_e32 v12, v10, v8
	v_lshlrev_b32_e32 v10, v10, v12
	v_cmp_ne_u32_e32 vcc, v10, v8
	v_fma_f16 v0, v13, v11, -v0
	v_cndmask_b32_e64 v8, 0, 1, vcc
	v_add_u32_e32 v10, 0xfffffc10, v9
	v_cvt_f32_f16_e32 v0, v0
	v_or_b32_e32 v8, v12, v8
	v_lshl_or_b32 v9, v10, 12, v4
	v_cmp_gt_i32_e32 vcc, 1, v10
	v_cndmask_b32_e32 v8, v9, v8, vcc
	v_and_b32_e32 v9, 7, v8
	v_cmp_lt_i32_e32 vcc, 5, v9
	v_cmp_eq_u32_e64 s[0:1], 3, v9
	v_lshrrev_b32_e32 v11, 2, v8
	v_cvt_f64_f32_e32 v[8:9], v0
	s_or_b64 vcc, s[0:1], vcc
	v_addc_co_u32_e32 v0, vcc, 0, v11, vcc
	v_mul_f64 v[8:9], v[8:9], s[14:15]
	v_cmp_gt_i32_e32 vcc, 31, v10
	v_cndmask_b32_e32 v0, v6, v0, vcc
	v_cmp_ne_u32_e32 vcc, 0, v4
	v_cndmask_b32_e64 v4, 0, 1, vcc
	v_lshl_or_b32 v4, v4, 9, v6
	v_cmp_eq_u32_e32 vcc, s16, v10
	v_cndmask_b32_e32 v0, v0, v4, vcc
	v_lshrrev_b32_e32 v4, 16, v5
	v_and_or_b32 v0, v4, s10, v0
	v_and_or_b32 v4, v9, s18, v8
	v_cmp_ne_u32_e32 vcc, 0, v4
	v_cndmask_b32_e64 v4, 0, 1, vcc
	v_lshrrev_b32_e32 v5, 8, v9
	v_bfe_u32 v8, v9, 20, 11
	v_and_or_b32 v4, v5, s17, v4
	v_sub_u32_e32 v10, 0x3f1, v8
	v_or_b32_e32 v5, 0x1000, v4
	v_med3_i32 v10, v10, 0, 13
	v_lshrrev_b32_e32 v11, v10, v5
	v_lshlrev_b32_e32 v10, v10, v11
	v_cmp_ne_u32_e32 vcc, v10, v5
	v_cndmask_b32_e64 v5, 0, 1, vcc
	v_add_u32_e32 v8, 0xfffffc10, v8
	v_or_b32_e32 v5, v11, v5
	v_lshl_or_b32 v10, v8, 12, v4
	v_cmp_gt_i32_e32 vcc, 1, v8
	v_cndmask_b32_e32 v5, v10, v5, vcc
	v_and_b32_e32 v10, 7, v5
	v_cmp_lt_i32_e32 vcc, 5, v10
	v_cmp_eq_u32_e64 s[0:1], 3, v10
	v_lshrrev_b32_e32 v10, 16, v1
	v_lshrrev_b32_e32 v5, 2, v5
	s_or_b64 vcc, s[0:1], vcc
	s_waitcnt vmcnt(6)
	v_mul_f16_sdwa v11, v10, v14 dst_sel:DWORD dst_unused:UNUSED_PAD src0_sel:DWORD src1_sel:WORD_1
	v_addc_co_u32_e32 v5, vcc, 0, v5, vcc
	v_fma_f16 v11, v1, v14, v11
	v_cmp_gt_i32_e32 vcc, 31, v8
	v_cvt_f32_f16_e32 v11, v11
	v_cndmask_b32_e32 v5, v6, v5, vcc
	v_cmp_ne_u32_e32 vcc, 0, v4
	v_cndmask_b32_e64 v4, 0, 1, vcc
	v_lshl_or_b32 v4, v4, 9, v6
	v_cmp_eq_u32_e32 vcc, s16, v8
	v_cndmask_b32_e32 v8, v5, v4, vcc
	v_cvt_f64_f32_e32 v[4:5], v11
	v_lshrrev_b32_e32 v9, 16, v9
	v_and_or_b32 v8, v9, s10, v8
	v_and_b32_e32 v0, 0xffff, v0
	v_mul_f64 v[4:5], v[4:5], s[14:15]
	v_lshl_or_b32 v0, v8, 16, v0
	v_mov_b32_e32 v8, s2
	v_add_co_u32_e32 v2, vcc, s3, v2
	v_addc_co_u32_e32 v3, vcc, v3, v8, vcc
	global_store_dword v[2:3], v0, off
	v_and_or_b32 v0, v5, s18, v4
	v_cmp_ne_u32_e32 vcc, 0, v0
	v_cndmask_b32_e64 v0, 0, 1, vcc
	v_lshrrev_b32_e32 v4, 8, v5
	v_bfe_u32 v8, v5, 20, 11
	v_and_or_b32 v4, v4, s17, v0
	v_sub_u32_e32 v9, 0x3f1, v8
	v_or_b32_e32 v0, 0x1000, v4
	v_med3_i32 v9, v9, 0, 13
	v_lshrrev_b32_e32 v11, v9, v0
	v_lshlrev_b32_e32 v9, v9, v11
	v_mul_f16_sdwa v1, v1, v14 dst_sel:DWORD dst_unused:UNUSED_PAD src0_sel:DWORD src1_sel:WORD_1
	v_cmp_ne_u32_e32 vcc, v9, v0
	v_fma_f16 v1, v14, v10, -v1
	v_cndmask_b32_e64 v0, 0, 1, vcc
	v_add_u32_e32 v8, 0xfffffc10, v8
	v_cvt_f32_f16_e32 v1, v1
	v_or_b32_e32 v0, v11, v0
	v_lshl_or_b32 v9, v8, 12, v4
	v_cmp_gt_i32_e32 vcc, 1, v8
	v_cndmask_b32_e32 v0, v9, v0, vcc
	v_and_b32_e32 v9, 7, v0
	v_cmp_lt_i32_e32 vcc, 5, v9
	v_cmp_eq_u32_e64 s[0:1], 3, v9
	v_lshrrev_b32_e32 v9, 2, v0
	v_cvt_f64_f32_e32 v[0:1], v1
	s_or_b64 vcc, s[0:1], vcc
	v_addc_co_u32_e32 v9, vcc, 0, v9, vcc
	v_mul_f64 v[0:1], v[0:1], s[14:15]
	v_cmp_gt_i32_e32 vcc, 31, v8
	v_cndmask_b32_e32 v9, v6, v9, vcc
	v_cmp_ne_u32_e32 vcc, 0, v4
	v_cndmask_b32_e64 v4, 0, 1, vcc
	v_lshl_or_b32 v4, v4, 9, v6
	v_cmp_eq_u32_e32 vcc, s16, v8
	v_cndmask_b32_e32 v4, v9, v4, vcc
	v_and_or_b32 v0, v1, s18, v0
	v_lshrrev_b32_e32 v5, 16, v5
	v_cmp_ne_u32_e32 vcc, 0, v0
	v_and_or_b32 v10, v5, s10, v4
	v_cndmask_b32_e64 v0, 0, 1, vcc
	v_lshrrev_b32_e32 v4, 8, v1
	v_bfe_u32 v5, v1, 20, 11
	v_and_or_b32 v0, v4, s17, v0
	v_sub_u32_e32 v8, 0x3f1, v5
	v_or_b32_e32 v4, 0x1000, v0
	v_med3_i32 v8, v8, 0, 13
	v_lshrrev_b32_e32 v9, v8, v4
	v_lshlrev_b32_e32 v8, v8, v9
	v_cmp_ne_u32_e32 vcc, v8, v4
	v_cndmask_b32_e64 v4, 0, 1, vcc
	v_add_u32_e32 v8, 0xfffffc10, v5
	v_or_b32_e32 v4, v9, v4
	v_lshl_or_b32 v5, v8, 12, v0
	v_cmp_gt_i32_e32 vcc, 1, v8
	v_cndmask_b32_e32 v4, v5, v4, vcc
	v_and_b32_e32 v5, 7, v4
	v_cmp_lt_i32_e32 vcc, 5, v5
	v_cmp_eq_u32_e64 s[0:1], 3, v5
	v_lshrrev_b32_e32 v4, 2, v4
	s_or_b64 vcc, s[0:1], vcc
	v_addc_co_u32_e32 v9, vcc, 0, v4, vcc
	v_add_u32_e32 v4, 0x600, v34
	ds_read2_b32 v[4:5], v4 offset0:78 offset1:144
	v_cmp_gt_i32_e32 vcc, 31, v8
	v_cndmask_b32_e32 v9, v6, v9, vcc
	v_cmp_ne_u32_e32 vcc, 0, v0
	v_cndmask_b32_e64 v0, 0, 1, vcc
	s_waitcnt lgkmcnt(0)
	v_lshrrev_b32_e32 v11, 16, v4
	s_waitcnt vmcnt(6)
	v_mul_f16_sdwa v12, v11, v7 dst_sel:DWORD dst_unused:UNUSED_PAD src0_sel:DWORD src1_sel:WORD_1
	v_fma_f16 v12, v4, v7, v12
	v_cvt_f32_f16_e32 v12, v12
	v_lshl_or_b32 v0, v0, 9, v6
	v_cmp_eq_u32_e32 vcc, s16, v8
	v_cndmask_b32_e32 v0, v9, v0, vcc
	v_cvt_f64_f32_e32 v[8:9], v12
	v_lshrrev_b32_e32 v1, 16, v1
	v_and_or_b32 v12, v1, s10, v0
	v_and_b32_e32 v10, 0xffff, v10
	v_mul_f64 v[0:1], v[8:9], s[14:15]
	global_load_dword v9, v32, s[6:7] offset:2112
	v_lshl_or_b32 v8, v12, 16, v10
	v_mov_b32_e32 v10, s2
	v_add_co_u32_e32 v2, vcc, s3, v2
	v_addc_co_u32_e32 v3, vcc, v3, v10, vcc
	v_and_or_b32 v0, v1, s18, v0
	v_cmp_ne_u32_e32 vcc, 0, v0
	global_store_dword v[2:3], v8, off
	v_cndmask_b32_e64 v0, 0, 1, vcc
	v_lshrrev_b32_e32 v8, 8, v1
	v_bfe_u32 v10, v1, 20, 11
	v_and_or_b32 v0, v8, s17, v0
	v_sub_u32_e32 v12, 0x3f1, v10
	v_or_b32_e32 v8, 0x1000, v0
	v_med3_i32 v12, v12, 0, 13
	v_lshrrev_b32_e32 v13, v12, v8
	v_mul_f16_sdwa v4, v4, v7 dst_sel:DWORD dst_unused:UNUSED_PAD src0_sel:DWORD src1_sel:WORD_1
	v_lshlrev_b32_e32 v12, v12, v13
	v_fma_f16 v4, v7, v11, -v4
	v_cmp_ne_u32_e32 vcc, v12, v8
	v_cvt_f32_f16_e32 v4, v4
	v_cndmask_b32_e64 v8, 0, 1, vcc
	v_add_u32_e32 v10, 0xfffffc10, v10
	v_or_b32_e32 v8, v13, v8
	v_lshl_or_b32 v12, v10, 12, v0
	v_cmp_gt_i32_e32 vcc, 1, v10
	v_cndmask_b32_e32 v8, v12, v8, vcc
	v_and_b32_e32 v12, 7, v8
	v_lshrrev_b32_e32 v11, 2, v8
	v_cvt_f64_f32_e32 v[7:8], v4
	v_cmp_lt_i32_e32 vcc, 5, v12
	v_cmp_eq_u32_e64 s[0:1], 3, v12
	s_or_b64 vcc, s[0:1], vcc
	v_mul_f64 v[7:8], v[7:8], s[14:15]
	v_addc_co_u32_e32 v4, vcc, 0, v11, vcc
	v_cmp_gt_i32_e32 vcc, 31, v10
	v_cndmask_b32_e32 v4, v6, v4, vcc
	v_cmp_ne_u32_e32 vcc, 0, v0
	v_cndmask_b32_e64 v0, 0, 1, vcc
	v_lshl_or_b32 v0, v0, 9, v6
	v_cmp_eq_u32_e32 vcc, s16, v10
	v_cndmask_b32_e32 v0, v4, v0, vcc
	v_lshrrev_b32_e32 v1, 16, v1
	v_and_or_b32 v4, v1, s10, v0
	v_and_or_b32 v0, v8, s18, v7
	v_cmp_ne_u32_e32 vcc, 0, v0
	v_cndmask_b32_e64 v0, 0, 1, vcc
	v_lshrrev_b32_e32 v1, 8, v8
	v_bfe_u32 v7, v8, 20, 11
	v_and_or_b32 v0, v1, s17, v0
	v_sub_u32_e32 v10, 0x3f1, v7
	v_or_b32_e32 v1, 0x1000, v0
	v_med3_i32 v10, v10, 0, 13
	v_lshrrev_b32_e32 v11, v10, v1
	v_lshlrev_b32_e32 v10, v10, v11
	v_cmp_ne_u32_e32 vcc, v10, v1
	v_cndmask_b32_e64 v1, 0, 1, vcc
	v_or_b32_e32 v1, v11, v1
	global_load_dword v11, v32, s[6:7] offset:2376
	global_load_dword v12, v32, s[6:7] offset:2640
	;; [unrolled: 1-line block ×3, first 2 shown]
	v_add_u32_e32 v7, 0xfffffc10, v7
	v_lshl_or_b32 v10, v7, 12, v0
	v_cmp_gt_i32_e32 vcc, 1, v7
	v_cndmask_b32_e32 v1, v10, v1, vcc
	v_and_b32_e32 v10, 7, v1
	v_cmp_lt_i32_e32 vcc, 5, v10
	v_cmp_eq_u32_e64 s[0:1], 3, v10
	v_lshrrev_b32_e32 v10, 16, v5
	v_lshrrev_b32_e32 v1, 2, v1
	s_or_b64 vcc, s[0:1], vcc
	v_addc_co_u32_e32 v1, vcc, 0, v1, vcc
	v_cmp_gt_i32_e32 vcc, 31, v7
	v_cndmask_b32_e32 v1, v6, v1, vcc
	v_cmp_ne_u32_e32 vcc, 0, v0
	v_cndmask_b32_e64 v0, 0, 1, vcc
	v_lshl_or_b32 v0, v0, 9, v6
	v_cmp_eq_u32_e32 vcc, s16, v7
	s_waitcnt vmcnt(4)
	v_mul_f16_sdwa v14, v10, v9 dst_sel:DWORD dst_unused:UNUSED_PAD src0_sel:DWORD src1_sel:WORD_1
	v_fma_f16 v14, v5, v9, v14
	v_cvt_f32_f16_e32 v14, v14
	v_cndmask_b32_e32 v7, v1, v0, vcc
	v_lshrrev_b32_e32 v8, 16, v8
	v_and_or_b32 v7, v8, s10, v7
	v_cvt_f64_f32_e32 v[0:1], v14
	v_and_b32_e32 v4, 0xffff, v4
	v_lshl_or_b32 v4, v7, 16, v4
	v_mov_b32_e32 v7, s2
	v_mul_f64 v[0:1], v[0:1], s[14:15]
	v_add_co_u32_e32 v2, vcc, s3, v2
	v_addc_co_u32_e32 v3, vcc, v3, v7, vcc
	global_store_dword v[2:3], v4, off
	v_mul_f16_sdwa v5, v5, v9 dst_sel:DWORD dst_unused:UNUSED_PAD src0_sel:DWORD src1_sel:WORD_1
	v_fma_f16 v5, v9, v10, -v5
	v_and_or_b32 v0, v1, s18, v0
	v_cmp_ne_u32_e32 vcc, 0, v0
	v_cndmask_b32_e64 v0, 0, 1, vcc
	v_lshrrev_b32_e32 v4, 8, v1
	v_bfe_u32 v7, v1, 20, 11
	v_and_or_b32 v0, v4, s17, v0
	v_sub_u32_e32 v8, 0x3f1, v7
	v_or_b32_e32 v4, 0x1000, v0
	v_med3_i32 v8, v8, 0, 13
	v_lshrrev_b32_e32 v14, v8, v4
	v_lshlrev_b32_e32 v8, v8, v14
	v_cmp_ne_u32_e32 vcc, v8, v4
	v_cndmask_b32_e64 v4, 0, 1, vcc
	v_add_u32_e32 v7, 0xfffffc10, v7
	v_cvt_f32_f16_e32 v5, v5
	v_or_b32_e32 v4, v14, v4
	v_lshl_or_b32 v8, v7, 12, v0
	v_cmp_gt_i32_e32 vcc, 1, v7
	v_cndmask_b32_e32 v4, v8, v4, vcc
	v_and_b32_e32 v8, 7, v4
	v_cmp_lt_i32_e32 vcc, 5, v8
	v_cmp_eq_u32_e64 s[0:1], 3, v8
	v_lshrrev_b32_e32 v8, 2, v4
	v_cvt_f64_f32_e32 v[4:5], v5
	s_or_b64 vcc, s[0:1], vcc
	v_addc_co_u32_e32 v8, vcc, 0, v8, vcc
	v_mul_f64 v[4:5], v[4:5], s[14:15]
	v_cmp_gt_i32_e32 vcc, 31, v7
	v_cndmask_b32_e32 v8, v6, v8, vcc
	v_cmp_ne_u32_e32 vcc, 0, v0
	v_cndmask_b32_e64 v0, 0, 1, vcc
	v_lshl_or_b32 v0, v0, 9, v6
	v_cmp_eq_u32_e32 vcc, s16, v7
	v_cndmask_b32_e32 v0, v8, v0, vcc
	v_lshrrev_b32_e32 v1, 16, v1
	v_and_or_b32 v9, v1, s10, v0
	v_and_or_b32 v0, v5, s18, v4
	v_cmp_ne_u32_e32 vcc, 0, v0
	v_cndmask_b32_e64 v0, 0, 1, vcc
	v_lshrrev_b32_e32 v1, 8, v5
	v_and_or_b32 v4, v1, s17, v0
	v_bfe_u32 v1, v5, 20, 11
	v_sub_u32_e32 v7, 0x3f1, v1
	v_or_b32_e32 v0, 0x1000, v4
	v_med3_i32 v7, v7, 0, 13
	v_lshrrev_b32_e32 v8, v7, v0
	v_lshlrev_b32_e32 v7, v7, v8
	v_cmp_ne_u32_e32 vcc, v7, v0
	v_cndmask_b32_e64 v0, 0, 1, vcc
	v_add_u32_e32 v7, 0xfffffc10, v1
	v_or_b32_e32 v0, v8, v0
	v_lshl_or_b32 v1, v7, 12, v4
	v_cmp_gt_i32_e32 vcc, 1, v7
	v_cndmask_b32_e32 v0, v1, v0, vcc
	v_and_b32_e32 v1, 7, v0
	v_cmp_lt_i32_e32 vcc, 5, v1
	v_cmp_eq_u32_e64 s[0:1], 3, v1
	v_lshrrev_b32_e32 v0, 2, v0
	s_or_b64 vcc, s[0:1], vcc
	v_addc_co_u32_e32 v8, vcc, 0, v0, vcc
	v_add_u32_e32 v0, 0x800, v34
	ds_read2_b32 v[0:1], v0 offset0:82 offset1:148
	v_cmp_gt_i32_e32 vcc, 31, v7
	v_cndmask_b32_e32 v8, v6, v8, vcc
	v_cmp_ne_u32_e32 vcc, 0, v4
	v_cndmask_b32_e64 v4, 0, 1, vcc
	s_waitcnt lgkmcnt(0)
	v_lshrrev_b32_e32 v10, 16, v0
	s_waitcnt vmcnt(3)
	v_mul_f16_sdwa v14, v10, v11 dst_sel:DWORD dst_unused:UNUSED_PAD src0_sel:DWORD src1_sel:WORD_1
	v_fma_f16 v14, v0, v11, v14
	v_cvt_f32_f16_e32 v14, v14
	v_lshl_or_b32 v4, v4, 9, v6
	v_cmp_eq_u32_e32 vcc, s16, v7
	v_cndmask_b32_e32 v4, v8, v4, vcc
	v_cvt_f64_f32_e32 v[7:8], v14
	v_lshrrev_b32_e32 v5, 16, v5
	v_and_or_b32 v14, v5, s10, v4
	v_add_co_u32_e32 v2, vcc, s3, v2
	v_mul_f64 v[4:5], v[7:8], s[14:15]
	v_mov_b32_e32 v8, s2
	v_and_b32_e32 v9, 0xffff, v9
	v_addc_co_u32_e32 v3, vcc, v3, v8, vcc
	v_lshl_or_b32 v7, v14, 16, v9
	global_store_dword v[2:3], v7, off
	v_mul_f16_sdwa v0, v0, v11 dst_sel:DWORD dst_unused:UNUSED_PAD src0_sel:DWORD src1_sel:WORD_1
	v_and_or_b32 v4, v5, s18, v4
	v_cmp_ne_u32_e32 vcc, 0, v4
	v_cndmask_b32_e64 v4, 0, 1, vcc
	v_lshrrev_b32_e32 v7, 8, v5
	v_bfe_u32 v8, v5, 20, 11
	v_and_or_b32 v4, v7, s17, v4
	v_sub_u32_e32 v9, 0x3f1, v8
	v_or_b32_e32 v7, 0x1000, v4
	v_med3_i32 v9, v9, 0, 13
	v_lshrrev_b32_e32 v14, v9, v7
	v_lshlrev_b32_e32 v9, v9, v14
	v_cmp_ne_u32_e32 vcc, v9, v7
	v_fma_f16 v0, v11, v10, -v0
	v_cndmask_b32_e64 v7, 0, 1, vcc
	v_add_u32_e32 v9, 0xfffffc10, v8
	v_cvt_f32_f16_e32 v0, v0
	v_or_b32_e32 v7, v14, v7
	v_lshl_or_b32 v8, v9, 12, v4
	v_cmp_gt_i32_e32 vcc, 1, v9
	v_cndmask_b32_e32 v7, v8, v7, vcc
	v_and_b32_e32 v8, 7, v7
	v_cmp_lt_i32_e32 vcc, 5, v8
	v_cmp_eq_u32_e64 s[0:1], 3, v8
	v_lshrrev_b32_e32 v10, 2, v7
	v_cvt_f64_f32_e32 v[7:8], v0
	s_or_b64 vcc, s[0:1], vcc
	v_addc_co_u32_e32 v0, vcc, 0, v10, vcc
	v_mul_f64 v[7:8], v[7:8], s[14:15]
	v_cmp_gt_i32_e32 vcc, 31, v9
	v_cndmask_b32_e32 v0, v6, v0, vcc
	v_cmp_ne_u32_e32 vcc, 0, v4
	v_cndmask_b32_e64 v4, 0, 1, vcc
	v_lshl_or_b32 v4, v4, 9, v6
	v_cmp_eq_u32_e32 vcc, s16, v9
	v_cndmask_b32_e32 v0, v0, v4, vcc
	v_lshrrev_b32_e32 v4, 16, v5
	v_and_or_b32 v0, v4, s10, v0
	v_and_or_b32 v4, v8, s18, v7
	v_cmp_ne_u32_e32 vcc, 0, v4
	v_cndmask_b32_e64 v4, 0, 1, vcc
	v_lshrrev_b32_e32 v5, 8, v8
	v_bfe_u32 v7, v8, 20, 11
	v_and_or_b32 v4, v5, s17, v4
	v_sub_u32_e32 v9, 0x3f1, v7
	v_or_b32_e32 v5, 0x1000, v4
	v_med3_i32 v9, v9, 0, 13
	v_lshrrev_b32_e32 v10, v9, v5
	v_lshlrev_b32_e32 v9, v9, v10
	v_cmp_ne_u32_e32 vcc, v9, v5
	v_cndmask_b32_e64 v5, 0, 1, vcc
	v_add_u32_e32 v7, 0xfffffc10, v7
	v_or_b32_e32 v5, v10, v5
	v_lshl_or_b32 v9, v7, 12, v4
	v_cmp_gt_i32_e32 vcc, 1, v7
	v_cndmask_b32_e32 v5, v9, v5, vcc
	v_and_b32_e32 v9, 7, v5
	v_cmp_lt_i32_e32 vcc, 5, v9
	v_cmp_eq_u32_e64 s[0:1], 3, v9
	v_lshrrev_b32_e32 v9, 16, v1
	v_lshrrev_b32_e32 v5, 2, v5
	s_or_b64 vcc, s[0:1], vcc
	s_waitcnt vmcnt(3)
	v_mul_f16_sdwa v10, v9, v12 dst_sel:DWORD dst_unused:UNUSED_PAD src0_sel:DWORD src1_sel:WORD_1
	v_addc_co_u32_e32 v5, vcc, 0, v5, vcc
	v_fma_f16 v10, v1, v12, v10
	v_cmp_gt_i32_e32 vcc, 31, v7
	v_cvt_f32_f16_e32 v10, v10
	v_cndmask_b32_e32 v5, v6, v5, vcc
	v_cmp_ne_u32_e32 vcc, 0, v4
	v_cndmask_b32_e64 v4, 0, 1, vcc
	v_lshl_or_b32 v4, v4, 9, v6
	v_cmp_eq_u32_e32 vcc, s16, v7
	v_cndmask_b32_e32 v7, v5, v4, vcc
	v_cvt_f64_f32_e32 v[4:5], v10
	v_lshrrev_b32_e32 v8, 16, v8
	v_and_or_b32 v7, v8, s10, v7
	v_and_b32_e32 v0, 0xffff, v0
	v_mul_f64 v[4:5], v[4:5], s[14:15]
	v_lshl_or_b32 v0, v7, 16, v0
	v_mov_b32_e32 v7, s2
	v_add_co_u32_e32 v2, vcc, s3, v2
	v_addc_co_u32_e32 v3, vcc, v3, v7, vcc
	global_store_dword v[2:3], v0, off
	v_and_or_b32 v0, v5, s18, v4
	v_cmp_ne_u32_e32 vcc, 0, v0
	v_cndmask_b32_e64 v0, 0, 1, vcc
	v_lshrrev_b32_e32 v4, 8, v5
	v_bfe_u32 v7, v5, 20, 11
	v_and_or_b32 v4, v4, s17, v0
	v_sub_u32_e32 v8, 0x3f1, v7
	v_or_b32_e32 v0, 0x1000, v4
	v_med3_i32 v8, v8, 0, 13
	v_lshrrev_b32_e32 v10, v8, v0
	v_lshlrev_b32_e32 v8, v8, v10
	v_mul_f16_sdwa v1, v1, v12 dst_sel:DWORD dst_unused:UNUSED_PAD src0_sel:DWORD src1_sel:WORD_1
	v_cmp_ne_u32_e32 vcc, v8, v0
	v_fma_f16 v1, v12, v9, -v1
	v_cndmask_b32_e64 v0, 0, 1, vcc
	v_add_u32_e32 v7, 0xfffffc10, v7
	v_cvt_f32_f16_e32 v1, v1
	v_or_b32_e32 v0, v10, v0
	v_lshl_or_b32 v8, v7, 12, v4
	v_cmp_gt_i32_e32 vcc, 1, v7
	v_cndmask_b32_e32 v0, v8, v0, vcc
	v_and_b32_e32 v8, 7, v0
	v_cmp_lt_i32_e32 vcc, 5, v8
	v_cmp_eq_u32_e64 s[0:1], 3, v8
	v_lshrrev_b32_e32 v8, 2, v0
	v_cvt_f64_f32_e32 v[0:1], v1
	s_or_b64 vcc, s[0:1], vcc
	v_addc_co_u32_e32 v8, vcc, 0, v8, vcc
	v_mul_f64 v[0:1], v[0:1], s[14:15]
	v_cmp_gt_i32_e32 vcc, 31, v7
	v_cndmask_b32_e32 v8, v6, v8, vcc
	v_cmp_ne_u32_e32 vcc, 0, v4
	v_cndmask_b32_e64 v4, 0, 1, vcc
	v_lshl_or_b32 v4, v4, 9, v6
	v_cmp_eq_u32_e32 vcc, s16, v7
	v_cndmask_b32_e32 v4, v8, v4, vcc
	v_and_or_b32 v0, v1, s18, v0
	v_lshrrev_b32_e32 v5, 16, v5
	v_cmp_ne_u32_e32 vcc, 0, v0
	v_and_or_b32 v9, v5, s10, v4
	v_cndmask_b32_e64 v0, 0, 1, vcc
	v_lshrrev_b32_e32 v4, 8, v1
	v_bfe_u32 v5, v1, 20, 11
	v_and_or_b32 v0, v4, s17, v0
	v_sub_u32_e32 v7, 0x3f1, v5
	v_or_b32_e32 v4, 0x1000, v0
	v_med3_i32 v7, v7, 0, 13
	v_lshrrev_b32_e32 v8, v7, v4
	v_lshlrev_b32_e32 v7, v7, v8
	v_cmp_ne_u32_e32 vcc, v7, v4
	v_cndmask_b32_e64 v4, 0, 1, vcc
	v_add_u32_e32 v7, 0xfffffc10, v5
	v_or_b32_e32 v4, v8, v4
	v_lshl_or_b32 v5, v7, 12, v0
	v_cmp_gt_i32_e32 vcc, 1, v7
	v_cndmask_b32_e32 v4, v5, v4, vcc
	v_and_b32_e32 v5, 7, v4
	v_cmp_lt_i32_e32 vcc, 5, v5
	v_cmp_eq_u32_e64 s[0:1], 3, v5
	v_lshrrev_b32_e32 v4, 2, v4
	s_or_b64 vcc, s[0:1], vcc
	v_addc_co_u32_e32 v8, vcc, 0, v4, vcc
	v_add_u32_e32 v4, 0xa00, v34
	ds_read2_b32 v[4:5], v4 offset0:86 offset1:152
	v_cmp_gt_i32_e32 vcc, 31, v7
	v_cndmask_b32_e32 v8, v6, v8, vcc
	v_cmp_ne_u32_e32 vcc, 0, v0
	v_cndmask_b32_e64 v0, 0, 1, vcc
	s_waitcnt lgkmcnt(0)
	v_lshrrev_b32_e32 v10, 16, v4
	s_waitcnt vmcnt(3)
	v_mul_f16_sdwa v11, v10, v13 dst_sel:DWORD dst_unused:UNUSED_PAD src0_sel:DWORD src1_sel:WORD_1
	v_fma_f16 v11, v4, v13, v11
	v_cvt_f32_f16_e32 v11, v11
	v_lshl_or_b32 v0, v0, 9, v6
	v_cmp_eq_u32_e32 vcc, s16, v7
	v_cndmask_b32_e32 v0, v8, v0, vcc
	v_cvt_f64_f32_e32 v[7:8], v11
	v_lshrrev_b32_e32 v1, 16, v1
	v_and_or_b32 v11, v1, s10, v0
	v_add_co_u32_e32 v2, vcc, s3, v2
	v_mul_f64 v[0:1], v[7:8], s[14:15]
	v_mov_b32_e32 v8, s2
	v_and_b32_e32 v9, 0xffff, v9
	v_addc_co_u32_e32 v3, vcc, v3, v8, vcc
	v_lshl_or_b32 v7, v11, 16, v9
	global_store_dword v[2:3], v7, off
	v_mul_f16_sdwa v4, v4, v13 dst_sel:DWORD dst_unused:UNUSED_PAD src0_sel:DWORD src1_sel:WORD_1
	v_and_or_b32 v0, v1, s18, v0
	v_cmp_ne_u32_e32 vcc, 0, v0
	v_cndmask_b32_e64 v0, 0, 1, vcc
	v_lshrrev_b32_e32 v7, 8, v1
	v_bfe_u32 v8, v1, 20, 11
	v_and_or_b32 v0, v7, s17, v0
	v_sub_u32_e32 v9, 0x3f1, v8
	v_or_b32_e32 v7, 0x1000, v0
	v_med3_i32 v9, v9, 0, 13
	v_lshrrev_b32_e32 v11, v9, v7
	v_lshlrev_b32_e32 v9, v9, v11
	v_cmp_ne_u32_e32 vcc, v9, v7
	v_fma_f16 v4, v13, v10, -v4
	v_cndmask_b32_e64 v7, 0, 1, vcc
	v_add_u32_e32 v9, 0xfffffc10, v8
	v_cvt_f32_f16_e32 v4, v4
	v_or_b32_e32 v7, v11, v7
	v_lshl_or_b32 v8, v9, 12, v0
	v_cmp_gt_i32_e32 vcc, 1, v9
	v_cndmask_b32_e32 v7, v8, v7, vcc
	v_and_b32_e32 v8, 7, v7
	v_cmp_lt_i32_e32 vcc, 5, v8
	v_cmp_eq_u32_e64 s[0:1], 3, v8
	v_lshrrev_b32_e32 v10, 2, v7
	v_cvt_f64_f32_e32 v[7:8], v4
	s_or_b64 vcc, s[0:1], vcc
	v_addc_co_u32_e32 v4, vcc, 0, v10, vcc
	v_mul_f64 v[7:8], v[7:8], s[14:15]
	v_cmp_gt_i32_e32 vcc, 31, v9
	v_cndmask_b32_e32 v4, v6, v4, vcc
	v_cmp_ne_u32_e32 vcc, 0, v0
	v_cndmask_b32_e64 v0, 0, 1, vcc
	v_lshl_or_b32 v0, v0, 9, v6
	v_cmp_eq_u32_e32 vcc, s16, v9
	v_cndmask_b32_e32 v0, v4, v0, vcc
	v_lshrrev_b32_e32 v1, 16, v1
	v_and_or_b32 v0, v1, s10, v0
	v_and_or_b32 v1, v8, s18, v7
	v_cmp_ne_u32_e32 vcc, 0, v1
	v_cndmask_b32_e64 v1, 0, 1, vcc
	v_lshrrev_b32_e32 v4, 8, v8
	v_bfe_u32 v7, v8, 20, 11
	v_and_or_b32 v1, v4, s17, v1
	v_sub_u32_e32 v9, 0x3f1, v7
	v_or_b32_e32 v4, 0x1000, v1
	v_med3_i32 v9, v9, 0, 13
	v_lshrrev_b32_e32 v10, v9, v4
	v_lshlrev_b32_e32 v9, v9, v10
	v_cmp_ne_u32_e32 vcc, v9, v4
	v_cndmask_b32_e64 v4, 0, 1, vcc
	v_add_u32_e32 v7, 0xfffffc10, v7
	v_or_b32_e32 v4, v10, v4
	v_lshl_or_b32 v9, v7, 12, v1
	v_cmp_gt_i32_e32 vcc, 1, v7
	v_cndmask_b32_e32 v4, v9, v4, vcc
	v_and_b32_e32 v9, 7, v4
	v_cmp_lt_i32_e32 vcc, 5, v9
	v_cmp_eq_u32_e64 s[0:1], 3, v9
	v_lshrrev_b32_e32 v4, 2, v4
	s_or_b64 vcc, s[0:1], vcc
	v_addc_co_u32_e32 v4, vcc, 0, v4, vcc
	v_cmp_gt_i32_e32 vcc, 31, v7
	v_cndmask_b32_e32 v4, v6, v4, vcc
	v_cmp_ne_u32_e32 vcc, 0, v1
	v_cndmask_b32_e64 v1, 0, 1, vcc
	v_lshl_or_b32 v1, v1, 9, v6
	v_cmp_eq_u32_e32 vcc, s16, v7
	v_cndmask_b32_e32 v1, v4, v1, vcc
	v_lshrrev_b32_e32 v4, 16, v8
	v_and_or_b32 v1, v4, s10, v1
	v_and_b32_e32 v0, 0xffff, v0
	v_lshl_or_b32 v4, v1, 16, v0
	v_mov_b32_e32 v1, s2
	v_add_co_u32_e32 v0, vcc, s3, v2
	v_addc_co_u32_e32 v1, vcc, v3, v1, vcc
	global_store_dword v[0:1], v4, off
	global_load_dword v4, v32, s[6:7] offset:3168
	v_lshrrev_b32_e32 v7, 16, v5
	s_waitcnt vmcnt(0)
	v_mul_f16_sdwa v2, v7, v4 dst_sel:DWORD dst_unused:UNUSED_PAD src0_sel:DWORD src1_sel:WORD_1
	v_fma_f16 v2, v5, v4, v2
	v_cvt_f32_f16_e32 v2, v2
	v_mul_f16_sdwa v5, v5, v4 dst_sel:DWORD dst_unused:UNUSED_PAD src0_sel:DWORD src1_sel:WORD_1
	v_fma_f16 v4, v4, v7, -v5
	v_cvt_f32_f16_e32 v4, v4
	v_cvt_f64_f32_e32 v[2:3], v2
	v_cvt_f64_f32_e32 v[4:5], v4
	v_mul_f64 v[2:3], v[2:3], s[14:15]
	v_mul_f64 v[4:5], v[4:5], s[14:15]
	v_and_or_b32 v2, v3, s18, v2
	v_cmp_ne_u32_e32 vcc, 0, v2
	v_cndmask_b32_e64 v2, 0, 1, vcc
	v_lshrrev_b32_e32 v8, 8, v3
	v_bfe_u32 v9, v3, 20, 11
	v_and_or_b32 v2, v8, s17, v2
	v_sub_u32_e32 v10, 0x3f1, v9
	v_or_b32_e32 v8, 0x1000, v2
	v_med3_i32 v10, v10, 0, 13
	v_lshrrev_b32_e32 v11, v10, v8
	v_lshlrev_b32_e32 v10, v10, v11
	v_cmp_ne_u32_e32 vcc, v10, v8
	v_cndmask_b32_e64 v8, 0, 1, vcc
	v_add_u32_e32 v9, 0xfffffc10, v9
	v_or_b32_e32 v8, v11, v8
	v_lshl_or_b32 v10, v9, 12, v2
	v_cmp_gt_i32_e32 vcc, 1, v9
	v_cndmask_b32_e32 v8, v10, v8, vcc
	v_and_b32_e32 v10, 7, v8
	v_cmp_lt_i32_e32 vcc, 5, v10
	v_cmp_eq_u32_e64 s[0:1], 3, v10
	v_lshrrev_b32_e32 v7, 2, v8
	s_or_b64 vcc, s[0:1], vcc
	v_addc_co_u32_e32 v7, vcc, 0, v7, vcc
	v_cmp_gt_i32_e32 vcc, 31, v9
	v_cndmask_b32_e32 v7, v6, v7, vcc
	v_cmp_ne_u32_e32 vcc, 0, v2
	v_cndmask_b32_e64 v2, 0, 1, vcc
	v_lshl_or_b32 v2, v2, 9, v6
	v_cmp_eq_u32_e32 vcc, s16, v9
	v_cndmask_b32_e32 v2, v7, v2, vcc
	v_lshrrev_b32_e32 v3, 16, v3
	v_and_or_b32 v2, v3, s10, v2
	v_and_or_b32 v3, v5, s18, v4
	v_cmp_ne_u32_e32 vcc, 0, v3
	v_cndmask_b32_e64 v3, 0, 1, vcc
	v_lshrrev_b32_e32 v4, 8, v5
	v_bfe_u32 v7, v5, 20, 11
	v_and_or_b32 v3, v4, s17, v3
	v_sub_u32_e32 v8, 0x3f1, v7
	v_or_b32_e32 v4, 0x1000, v3
	v_med3_i32 v8, v8, 0, 13
	v_lshrrev_b32_e32 v9, v8, v4
	v_lshlrev_b32_e32 v8, v8, v9
	v_cmp_ne_u32_e32 vcc, v8, v4
	v_cndmask_b32_e64 v4, 0, 1, vcc
	v_add_u32_e32 v7, 0xfffffc10, v7
	v_or_b32_e32 v4, v9, v4
	v_lshl_or_b32 v8, v7, 12, v3
	v_cmp_gt_i32_e32 vcc, 1, v7
	v_cndmask_b32_e32 v4, v8, v4, vcc
	v_and_b32_e32 v8, 7, v4
	v_cmp_lt_i32_e32 vcc, 5, v8
	v_cmp_eq_u32_e64 s[0:1], 3, v8
	v_lshrrev_b32_e32 v4, 2, v4
	s_or_b64 vcc, s[0:1], vcc
	v_addc_co_u32_e32 v4, vcc, 0, v4, vcc
	v_cmp_gt_i32_e32 vcc, 31, v7
	v_cndmask_b32_e32 v4, v6, v4, vcc
	v_cmp_ne_u32_e32 vcc, 0, v3
	v_cndmask_b32_e64 v3, 0, 1, vcc
	v_lshl_or_b32 v3, v3, 9, v6
	v_cmp_eq_u32_e32 vcc, s16, v7
	v_cndmask_b32_e32 v3, v4, v3, vcc
	v_lshrrev_b32_e32 v4, 16, v5
	v_and_or_b32 v3, v4, s10, v3
	v_and_b32_e32 v2, 0xffff, v2
	v_lshl_or_b32 v2, v3, 16, v2
	v_mov_b32_e32 v3, s2
	v_add_co_u32_e32 v0, vcc, s3, v0
	v_addc_co_u32_e32 v1, vcc, v1, v3, vcc
	global_store_dword v[0:1], v2, off
.LBB0_23:
	s_endpgm
	.section	.rodata,"a",@progbits
	.p2align	6, 0x0
	.amdhsa_kernel bluestein_single_back_len858_dim1_half_op_CI_CI
		.amdhsa_group_segment_fixed_size 10296
		.amdhsa_private_segment_fixed_size 0
		.amdhsa_kernarg_size 104
		.amdhsa_user_sgpr_count 6
		.amdhsa_user_sgpr_private_segment_buffer 1
		.amdhsa_user_sgpr_dispatch_ptr 0
		.amdhsa_user_sgpr_queue_ptr 0
		.amdhsa_user_sgpr_kernarg_segment_ptr 1
		.amdhsa_user_sgpr_dispatch_id 0
		.amdhsa_user_sgpr_flat_scratch_init 0
		.amdhsa_user_sgpr_private_segment_size 0
		.amdhsa_uses_dynamic_stack 0
		.amdhsa_system_sgpr_private_segment_wavefront_offset 0
		.amdhsa_system_sgpr_workgroup_id_x 1
		.amdhsa_system_sgpr_workgroup_id_y 0
		.amdhsa_system_sgpr_workgroup_id_z 0
		.amdhsa_system_sgpr_workgroup_info 0
		.amdhsa_system_vgpr_workitem_id 0
		.amdhsa_next_free_vgpr 149
		.amdhsa_next_free_sgpr 30
		.amdhsa_reserve_vcc 1
		.amdhsa_reserve_flat_scratch 0
		.amdhsa_float_round_mode_32 0
		.amdhsa_float_round_mode_16_64 0
		.amdhsa_float_denorm_mode_32 3
		.amdhsa_float_denorm_mode_16_64 3
		.amdhsa_dx10_clamp 1
		.amdhsa_ieee_mode 1
		.amdhsa_fp16_overflow 0
		.amdhsa_exception_fp_ieee_invalid_op 0
		.amdhsa_exception_fp_denorm_src 0
		.amdhsa_exception_fp_ieee_div_zero 0
		.amdhsa_exception_fp_ieee_overflow 0
		.amdhsa_exception_fp_ieee_underflow 0
		.amdhsa_exception_fp_ieee_inexact 0
		.amdhsa_exception_int_div_zero 0
	.end_amdhsa_kernel
	.text
.Lfunc_end0:
	.size	bluestein_single_back_len858_dim1_half_op_CI_CI, .Lfunc_end0-bluestein_single_back_len858_dim1_half_op_CI_CI
                                        ; -- End function
	.section	.AMDGPU.csdata,"",@progbits
; Kernel info:
; codeLenInByte = 22568
; NumSgprs: 34
; NumVgprs: 149
; ScratchSize: 0
; MemoryBound: 0
; FloatMode: 240
; IeeeMode: 1
; LDSByteSize: 10296 bytes/workgroup (compile time only)
; SGPRBlocks: 4
; VGPRBlocks: 37
; NumSGPRsForWavesPerEU: 34
; NumVGPRsForWavesPerEU: 149
; Occupancy: 1
; WaveLimiterHint : 1
; COMPUTE_PGM_RSRC2:SCRATCH_EN: 0
; COMPUTE_PGM_RSRC2:USER_SGPR: 6
; COMPUTE_PGM_RSRC2:TRAP_HANDLER: 0
; COMPUTE_PGM_RSRC2:TGID_X_EN: 1
; COMPUTE_PGM_RSRC2:TGID_Y_EN: 0
; COMPUTE_PGM_RSRC2:TGID_Z_EN: 0
; COMPUTE_PGM_RSRC2:TIDIG_COMP_CNT: 0
	.type	__hip_cuid_513dcee14b6df4f4,@object ; @__hip_cuid_513dcee14b6df4f4
	.section	.bss,"aw",@nobits
	.globl	__hip_cuid_513dcee14b6df4f4
__hip_cuid_513dcee14b6df4f4:
	.byte	0                               ; 0x0
	.size	__hip_cuid_513dcee14b6df4f4, 1

	.ident	"AMD clang version 19.0.0git (https://github.com/RadeonOpenCompute/llvm-project roc-6.4.0 25133 c7fe45cf4b819c5991fe208aaa96edf142730f1d)"
	.section	".note.GNU-stack","",@progbits
	.addrsig
	.addrsig_sym __hip_cuid_513dcee14b6df4f4
	.amdgpu_metadata
---
amdhsa.kernels:
  - .args:
      - .actual_access:  read_only
        .address_space:  global
        .offset:         0
        .size:           8
        .value_kind:     global_buffer
      - .actual_access:  read_only
        .address_space:  global
        .offset:         8
        .size:           8
        .value_kind:     global_buffer
      - .actual_access:  read_only
        .address_space:  global
        .offset:         16
        .size:           8
        .value_kind:     global_buffer
      - .actual_access:  read_only
        .address_space:  global
        .offset:         24
        .size:           8
        .value_kind:     global_buffer
      - .actual_access:  read_only
        .address_space:  global
        .offset:         32
        .size:           8
        .value_kind:     global_buffer
      - .offset:         40
        .size:           8
        .value_kind:     by_value
      - .address_space:  global
        .offset:         48
        .size:           8
        .value_kind:     global_buffer
      - .address_space:  global
        .offset:         56
        .size:           8
        .value_kind:     global_buffer
      - .address_space:  global
        .offset:         64
        .size:           8
        .value_kind:     global_buffer
      - .address_space:  global
        .offset:         72
        .size:           8
        .value_kind:     global_buffer
      - .offset:         80
        .size:           4
        .value_kind:     by_value
      - .address_space:  global
        .offset:         88
        .size:           8
        .value_kind:     global_buffer
      - .address_space:  global
        .offset:         96
        .size:           8
        .value_kind:     global_buffer
    .group_segment_fixed_size: 10296
    .kernarg_segment_align: 8
    .kernarg_segment_size: 104
    .language:       OpenCL C
    .language_version:
      - 2
      - 0
    .max_flat_workgroup_size: 234
    .name:           bluestein_single_back_len858_dim1_half_op_CI_CI
    .private_segment_fixed_size: 0
    .sgpr_count:     34
    .sgpr_spill_count: 0
    .symbol:         bluestein_single_back_len858_dim1_half_op_CI_CI.kd
    .uniform_work_group_size: 1
    .uses_dynamic_stack: false
    .vgpr_count:     149
    .vgpr_spill_count: 0
    .wavefront_size: 64
amdhsa.target:   amdgcn-amd-amdhsa--gfx906
amdhsa.version:
  - 1
  - 2
...

	.end_amdgpu_metadata
